;; amdgpu-corpus repo=ROCm/rocFFT kind=compiled arch=gfx906 opt=O3
	.text
	.amdgcn_target "amdgcn-amd-amdhsa--gfx906"
	.amdhsa_code_object_version 6
	.protected	fft_rtc_fwd_len408_factors_17_3_8_wgs_51_tpt_17_halfLds_dp_ip_CI_unitstride_sbrr_dirReg ; -- Begin function fft_rtc_fwd_len408_factors_17_3_8_wgs_51_tpt_17_halfLds_dp_ip_CI_unitstride_sbrr_dirReg
	.globl	fft_rtc_fwd_len408_factors_17_3_8_wgs_51_tpt_17_halfLds_dp_ip_CI_unitstride_sbrr_dirReg
	.p2align	8
	.type	fft_rtc_fwd_len408_factors_17_3_8_wgs_51_tpt_17_halfLds_dp_ip_CI_unitstride_sbrr_dirReg,@function
fft_rtc_fwd_len408_factors_17_3_8_wgs_51_tpt_17_halfLds_dp_ip_CI_unitstride_sbrr_dirReg: ; @fft_rtc_fwd_len408_factors_17_3_8_wgs_51_tpt_17_halfLds_dp_ip_CI_unitstride_sbrr_dirReg
; %bb.0:
	v_mul_u32_u24_e32 v1, 0xf10, v0
	s_load_dwordx2 s[2:3], s[4:5], 0x50
	s_load_dwordx4 s[8:11], s[4:5], 0x0
	s_load_dwordx2 s[12:13], s[4:5], 0x18
	v_lshrrev_b32_e32 v1, 16, v1
	v_mad_u64_u32 v[140:141], s[0:1], s6, 3, v[1:2]
	v_mov_b32_e32 v3, 0
	s_waitcnt lgkmcnt(0)
	v_cmp_lt_u64_e64 s[0:1], s[10:11], 2
	v_mov_b32_e32 v141, v3
	v_mov_b32_e32 v1, 0
	;; [unrolled: 1-line block ×3, first 2 shown]
	s_and_b64 vcc, exec, s[0:1]
	v_mov_b32_e32 v2, 0
	v_mov_b32_e32 v8, v141
	s_cbranch_vccnz .LBB0_8
; %bb.1:
	s_load_dwordx2 s[0:1], s[4:5], 0x10
	s_add_u32 s6, s12, 8
	s_addc_u32 s7, s13, 0
	v_mov_b32_e32 v1, 0
	v_mov_b32_e32 v5, v140
	s_waitcnt lgkmcnt(0)
	s_add_u32 s16, s0, 8
	s_mov_b64 s[14:15], 1
	v_mov_b32_e32 v2, 0
	s_addc_u32 s17, s1, 0
	v_mov_b32_e32 v6, v141
.LBB0_2:                                ; =>This Inner Loop Header: Depth=1
	s_load_dwordx2 s[18:19], s[16:17], 0x0
                                        ; implicit-def: $vgpr7_vgpr8
	s_waitcnt lgkmcnt(0)
	v_or_b32_e32 v4, s19, v6
	v_cmp_ne_u64_e32 vcc, 0, v[3:4]
	s_and_saveexec_b64 s[0:1], vcc
	s_xor_b64 s[20:21], exec, s[0:1]
	s_cbranch_execz .LBB0_4
; %bb.3:                                ;   in Loop: Header=BB0_2 Depth=1
	v_cvt_f32_u32_e32 v4, s18
	v_cvt_f32_u32_e32 v7, s19
	s_sub_u32 s0, 0, s18
	s_subb_u32 s1, 0, s19
	v_mac_f32_e32 v4, 0x4f800000, v7
	v_rcp_f32_e32 v4, v4
	v_mul_f32_e32 v4, 0x5f7ffffc, v4
	v_mul_f32_e32 v7, 0x2f800000, v4
	v_trunc_f32_e32 v7, v7
	v_mac_f32_e32 v4, 0xcf800000, v7
	v_cvt_u32_f32_e32 v7, v7
	v_cvt_u32_f32_e32 v4, v4
	v_mul_lo_u32 v8, s0, v7
	v_mul_hi_u32 v9, s0, v4
	v_mul_lo_u32 v11, s1, v4
	v_mul_lo_u32 v10, s0, v4
	v_add_u32_e32 v8, v9, v8
	v_add_u32_e32 v8, v8, v11
	v_mul_hi_u32 v9, v4, v10
	v_mul_lo_u32 v11, v4, v8
	v_mul_hi_u32 v13, v4, v8
	v_mul_hi_u32 v12, v7, v10
	v_mul_lo_u32 v10, v7, v10
	v_mul_hi_u32 v14, v7, v8
	v_add_co_u32_e32 v9, vcc, v9, v11
	v_addc_co_u32_e32 v11, vcc, 0, v13, vcc
	v_mul_lo_u32 v8, v7, v8
	v_add_co_u32_e32 v9, vcc, v9, v10
	v_addc_co_u32_e32 v9, vcc, v11, v12, vcc
	v_addc_co_u32_e32 v10, vcc, 0, v14, vcc
	v_add_co_u32_e32 v8, vcc, v9, v8
	v_addc_co_u32_e32 v9, vcc, 0, v10, vcc
	v_add_co_u32_e32 v4, vcc, v4, v8
	v_addc_co_u32_e32 v7, vcc, v7, v9, vcc
	v_mul_lo_u32 v8, s0, v7
	v_mul_hi_u32 v9, s0, v4
	v_mul_lo_u32 v10, s1, v4
	v_mul_lo_u32 v11, s0, v4
	v_add_u32_e32 v8, v9, v8
	v_add_u32_e32 v8, v8, v10
	v_mul_lo_u32 v12, v4, v8
	v_mul_hi_u32 v13, v4, v11
	v_mul_hi_u32 v14, v4, v8
	;; [unrolled: 1-line block ×3, first 2 shown]
	v_mul_lo_u32 v11, v7, v11
	v_mul_hi_u32 v9, v7, v8
	v_add_co_u32_e32 v12, vcc, v13, v12
	v_addc_co_u32_e32 v13, vcc, 0, v14, vcc
	v_mul_lo_u32 v8, v7, v8
	v_add_co_u32_e32 v11, vcc, v12, v11
	v_addc_co_u32_e32 v10, vcc, v13, v10, vcc
	v_addc_co_u32_e32 v9, vcc, 0, v9, vcc
	v_add_co_u32_e32 v8, vcc, v10, v8
	v_addc_co_u32_e32 v9, vcc, 0, v9, vcc
	v_add_co_u32_e32 v4, vcc, v4, v8
	v_addc_co_u32_e32 v9, vcc, v7, v9, vcc
	v_mad_u64_u32 v[7:8], s[0:1], v5, v9, 0
	v_mul_hi_u32 v10, v5, v4
	v_add_co_u32_e32 v11, vcc, v10, v7
	v_addc_co_u32_e32 v12, vcc, 0, v8, vcc
	v_mad_u64_u32 v[7:8], s[0:1], v6, v4, 0
	v_mad_u64_u32 v[9:10], s[0:1], v6, v9, 0
	v_add_co_u32_e32 v4, vcc, v11, v7
	v_addc_co_u32_e32 v4, vcc, v12, v8, vcc
	v_addc_co_u32_e32 v7, vcc, 0, v10, vcc
	v_add_co_u32_e32 v4, vcc, v4, v9
	v_addc_co_u32_e32 v9, vcc, 0, v7, vcc
	v_mul_lo_u32 v10, s19, v4
	v_mul_lo_u32 v11, s18, v9
	v_mad_u64_u32 v[7:8], s[0:1], s18, v4, 0
	v_add3_u32 v8, v8, v11, v10
	v_sub_u32_e32 v10, v6, v8
	v_mov_b32_e32 v11, s19
	v_sub_co_u32_e32 v7, vcc, v5, v7
	v_subb_co_u32_e64 v10, s[0:1], v10, v11, vcc
	v_subrev_co_u32_e64 v11, s[0:1], s18, v7
	v_subbrev_co_u32_e64 v10, s[0:1], 0, v10, s[0:1]
	v_cmp_le_u32_e64 s[0:1], s19, v10
	v_cndmask_b32_e64 v12, 0, -1, s[0:1]
	v_cmp_le_u32_e64 s[0:1], s18, v11
	v_cndmask_b32_e64 v11, 0, -1, s[0:1]
	v_cmp_eq_u32_e64 s[0:1], s19, v10
	v_cndmask_b32_e64 v10, v12, v11, s[0:1]
	v_add_co_u32_e64 v11, s[0:1], 2, v4
	v_addc_co_u32_e64 v12, s[0:1], 0, v9, s[0:1]
	v_add_co_u32_e64 v13, s[0:1], 1, v4
	v_addc_co_u32_e64 v14, s[0:1], 0, v9, s[0:1]
	v_subb_co_u32_e32 v8, vcc, v6, v8, vcc
	v_cmp_ne_u32_e64 s[0:1], 0, v10
	v_cmp_le_u32_e32 vcc, s19, v8
	v_cndmask_b32_e64 v10, v14, v12, s[0:1]
	v_cndmask_b32_e64 v12, 0, -1, vcc
	v_cmp_le_u32_e32 vcc, s18, v7
	v_cndmask_b32_e64 v7, 0, -1, vcc
	v_cmp_eq_u32_e32 vcc, s19, v8
	v_cndmask_b32_e32 v7, v12, v7, vcc
	v_cmp_ne_u32_e32 vcc, 0, v7
	v_cndmask_b32_e64 v7, v13, v11, s[0:1]
	v_cndmask_b32_e32 v8, v9, v10, vcc
	v_cndmask_b32_e32 v7, v4, v7, vcc
.LBB0_4:                                ;   in Loop: Header=BB0_2 Depth=1
	s_andn2_saveexec_b64 s[0:1], s[20:21]
	s_cbranch_execz .LBB0_6
; %bb.5:                                ;   in Loop: Header=BB0_2 Depth=1
	v_cvt_f32_u32_e32 v4, s18
	s_sub_i32 s20, 0, s18
	v_rcp_iflag_f32_e32 v4, v4
	v_mul_f32_e32 v4, 0x4f7ffffe, v4
	v_cvt_u32_f32_e32 v4, v4
	v_mul_lo_u32 v7, s20, v4
	v_mul_hi_u32 v7, v4, v7
	v_add_u32_e32 v4, v4, v7
	v_mul_hi_u32 v4, v5, v4
	v_mul_lo_u32 v7, v4, s18
	v_add_u32_e32 v8, 1, v4
	v_sub_u32_e32 v7, v5, v7
	v_subrev_u32_e32 v9, s18, v7
	v_cmp_le_u32_e32 vcc, s18, v7
	v_cndmask_b32_e32 v7, v7, v9, vcc
	v_cndmask_b32_e32 v4, v4, v8, vcc
	v_add_u32_e32 v8, 1, v4
	v_cmp_le_u32_e32 vcc, s18, v7
	v_cndmask_b32_e32 v7, v4, v8, vcc
	v_mov_b32_e32 v8, v3
.LBB0_6:                                ;   in Loop: Header=BB0_2 Depth=1
	s_or_b64 exec, exec, s[0:1]
	v_mul_lo_u32 v4, v8, s18
	v_mul_lo_u32 v11, v7, s19
	v_mad_u64_u32 v[9:10], s[0:1], v7, s18, 0
	s_load_dwordx2 s[0:1], s[6:7], 0x0
	s_add_u32 s14, s14, 1
	v_add3_u32 v4, v10, v11, v4
	v_sub_co_u32_e32 v5, vcc, v5, v9
	v_subb_co_u32_e32 v4, vcc, v6, v4, vcc
	s_waitcnt lgkmcnt(0)
	v_mul_lo_u32 v4, s0, v4
	v_mul_lo_u32 v6, s1, v5
	v_mad_u64_u32 v[1:2], s[0:1], s0, v5, v[1:2]
	s_addc_u32 s15, s15, 0
	s_add_u32 s6, s6, 8
	v_add3_u32 v2, v6, v2, v4
	v_mov_b32_e32 v4, s10
	v_mov_b32_e32 v5, s11
	s_addc_u32 s7, s7, 0
	v_cmp_ge_u64_e32 vcc, s[14:15], v[4:5]
	s_add_u32 s16, s16, 8
	s_addc_u32 s17, s17, 0
	s_cbranch_vccnz .LBB0_8
; %bb.7:                                ;   in Loop: Header=BB0_2 Depth=1
	v_mov_b32_e32 v5, v7
	v_mov_b32_e32 v6, v8
	s_branch .LBB0_2
.LBB0_8:
	s_lshl_b64 s[0:1], s[10:11], 3
	s_add_u32 s0, s12, s0
	s_addc_u32 s1, s13, s1
	s_load_dwordx2 s[6:7], s[0:1], 0x0
	s_load_dwordx2 s[10:11], s[4:5], 0x20
                                        ; implicit-def: $vgpr134_vgpr135
                                        ; implicit-def: $vgpr118_vgpr119
                                        ; implicit-def: $vgpr102_vgpr103
                                        ; implicit-def: $vgpr82_vgpr83
                                        ; implicit-def: $vgpr70_vgpr71
                                        ; implicit-def: $vgpr90_vgpr91
                                        ; implicit-def: $vgpr98_vgpr99
                                        ; implicit-def: $vgpr114_vgpr115
                                        ; implicit-def: $vgpr38_vgpr39
                                        ; implicit-def: $vgpr54_vgpr55
                                        ; implicit-def: $vgpr42_vgpr43
                                        ; implicit-def: $vgpr26_vgpr27
                                        ; implicit-def: $vgpr62_vgpr63
                                        ; implicit-def: $vgpr58_vgpr59
                                        ; implicit-def: $vgpr50_vgpr51
                                        ; implicit-def: $vgpr46_vgpr47
                                        ; implicit-def: $vgpr34_vgpr35
                                        ; implicit-def: $vgpr22_vgpr23
                                        ; implicit-def: $vgpr14_vgpr15
                                        ; implicit-def: $vgpr10_vgpr11
                                        ; implicit-def: $vgpr18_vgpr19
                                        ; implicit-def: $vgpr30_vgpr31
                                        ; implicit-def: $vgpr66_vgpr67
                                        ; implicit-def: $vgpr126_vgpr127
                                        ; implicit-def: $vgpr122_vgpr123
                                        ; implicit-def: $vgpr110_vgpr111
                                        ; implicit-def: $vgpr86_vgpr87
                                        ; implicit-def: $vgpr74_vgpr75
                                        ; implicit-def: $vgpr78_vgpr79
                                        ; implicit-def: $vgpr94_vgpr95
                                        ; implicit-def: $vgpr130_vgpr131
                                        ; implicit-def: $vgpr106_vgpr107
	s_waitcnt lgkmcnt(0)
	v_mad_u64_u32 v[1:2], s[0:1], s6, v7, v[1:2]
	v_mul_lo_u32 v3, s6, v8
	v_mul_lo_u32 v4, s7, v7
	s_mov_b32 s0, 0xf0f0f10
	v_mul_hi_u32 v5, v0, s0
	v_cmp_gt_u64_e32 vcc, s[10:11], v[7:8]
	v_add3_u32 v2, v4, v2, v3
	v_lshlrev_b64 v[138:139], 4, v[1:2]
	v_mul_u32_u24_e32 v3, 17, v5
	v_sub_u32_e32 v136, v0, v3
                                        ; implicit-def: $vgpr6_vgpr7
                                        ; implicit-def: $vgpr2_vgpr3
	s_and_saveexec_b64 s[4:5], vcc
	s_cbranch_execz .LBB0_12
; %bb.9:
	v_mov_b32_e32 v137, 0
	v_mov_b32_e32 v0, s3
	v_add_co_u32_e64 v2, s[0:1], s2, v138
	v_addc_co_u32_e64 v3, s[0:1], v0, v139, s[0:1]
	v_lshlrev_b64 v[0:1], 4, v[136:137]
                                        ; implicit-def: $vgpr64_vgpr65
                                        ; implicit-def: $vgpr28_vgpr29
                                        ; implicit-def: $vgpr16_vgpr17
                                        ; implicit-def: $vgpr8_vgpr9
                                        ; implicit-def: $vgpr4_vgpr5
                                        ; implicit-def: $vgpr12_vgpr13
                                        ; implicit-def: $vgpr20_vgpr21
                                        ; implicit-def: $vgpr32_vgpr33
                                        ; implicit-def: $vgpr44_vgpr45
                                        ; implicit-def: $vgpr48_vgpr49
                                        ; implicit-def: $vgpr56_vgpr57
                                        ; implicit-def: $vgpr60_vgpr61
                                        ; implicit-def: $vgpr24_vgpr25
                                        ; implicit-def: $vgpr40_vgpr41
                                        ; implicit-def: $vgpr52_vgpr53
                                        ; implicit-def: $vgpr36_vgpr37
	v_add_co_u32_e64 v46, s[0:1], v2, v0
	v_addc_co_u32_e64 v47, s[0:1], v3, v1, s[0:1]
	s_movk_i32 s0, 0x1000
	v_or_b32_e32 v0, 0x120, v136
	v_mov_b32_e32 v1, v137
	v_add_co_u32_e64 v62, s[0:1], s0, v46
	v_lshlrev_b64 v[0:1], 4, v[0:1]
	global_load_dwordx4 v[104:107], v[46:47], off
	global_load_dwordx4 v[132:135], v[46:47], off offset:384
	global_load_dwordx4 v[128:131], v[46:47], off offset:768
	;; [unrolled: 1-line block ×9, first 2 shown]
	v_addc_co_u32_e64 v63, s[0:1], 0, v47, s[0:1]
	v_add_co_u32_e64 v0, s[0:1], v2, v0
	v_addc_co_u32_e64 v1, s[0:1], v3, v1, s[0:1]
	global_load_dwordx4 v[84:87], v[46:47], off offset:3840
	global_load_dwordx4 v[88:91], v[62:63], off offset:128
	;; [unrolled: 1-line block ×4, first 2 shown]
	global_load_dwordx4 v[96:99], v[0:1], off
	global_load_dwordx4 v[120:123], v[62:63], off offset:1664
	v_or_b32_e32 v0, 0x180, v136
	v_mov_b32_e32 v1, v137
	v_lshlrev_b64 v[0:1], 4, v[0:1]
	v_add_co_u32_e64 v0, s[0:1], v2, v0
	v_addc_co_u32_e64 v1, s[0:1], v3, v1, s[0:1]
	global_load_dwordx4 v[124:127], v[0:1], off
	v_cmp_gt_u32_e64 s[0:1], 7, v136
                                        ; implicit-def: $vgpr0_vgpr1
	s_and_saveexec_b64 s[6:7], s[0:1]
	s_cbranch_execz .LBB0_11
; %bb.10:
	global_load_dwordx4 v[36:39], v[46:47], off offset:272
	global_load_dwordx4 v[64:67], v[46:47], off offset:656
	;; [unrolled: 1-line block ×13, first 2 shown]
                                        ; kill: killed $vgpr46 killed $vgpr47
	s_nop 0
	global_load_dwordx4 v[44:47], v[62:63], off offset:1168
	global_load_dwordx4 v[48:51], v[62:63], off offset:1552
	global_load_dwordx4 v[56:59], v[62:63], off offset:1936
	s_nop 0
	global_load_dwordx4 v[60:63], v[62:63], off offset:2320
.LBB0_11:
	s_or_b64 exec, exec, s[6:7]
.LBB0_12:
	s_or_b64 exec, exec, s[4:5]
	s_waitcnt vmcnt(15)
	v_add_f64 v[141:142], v[132:133], v[104:105]
	s_mov_b32 s0, 0xaaaaaaab
	v_mul_hi_u32 v137, v140, s0
	s_waitcnt vmcnt(0)
	v_add_f64 v[143:144], v[132:133], v[124:125]
	s_mov_b32 s10, 0x370991
	s_mov_b32 s11, 0x3fedd6d0
	v_lshrrev_b32_e32 v137, 1, v137
	v_lshl_add_u32 v137, v137, 1, v137
	v_add_f64 v[141:142], v[128:129], v[141:142]
	v_sub_u32_e32 v137, v140, v137
	v_add_f64 v[145:146], v[134:135], -v[126:127]
	v_add_f64 v[147:148], v[120:121], v[128:129]
	v_mul_f64 v[151:152], v[143:144], s[10:11]
	s_mov_b32 s12, 0x75d4884
	s_mov_b32 s4, 0x2b2883cd
	;; [unrolled: 1-line block ×3, first 2 shown]
	v_add_f64 v[141:142], v[116:117], v[141:142]
	s_mov_b32 s18, 0xc61f0d01
	s_mov_b32 s24, 0x6ed5f1bb
	;; [unrolled: 1-line block ×7, first 2 shown]
	v_add_f64 v[141:142], v[100:101], v[141:142]
	s_mov_b32 s7, 0x3fb79ee6
	s_mov_b32 s19, 0xbfd183b1
	;; [unrolled: 1-line block ×6, first 2 shown]
	v_mul_f64 v[153:154], v[143:144], s[12:13]
	v_add_f64 v[141:142], v[92:93], v[141:142]
	v_mul_f64 v[155:156], v[143:144], s[4:5]
	v_mul_f64 v[157:158], v[143:144], s[6:7]
	v_mul_f64 v[159:160], v[143:144], s[18:19]
	v_mul_f64 v[161:162], v[143:144], s[24:25]
	v_mul_f64 v[163:164], v[143:144], s[34:35]
	v_add_f64 v[149:150], v[130:131], -v[122:123]
	v_mul_f64 v[165:166], v[147:148], s[12:13]
	v_add_f64 v[141:142], v[80:81], v[141:142]
	v_fma_f64 v[173:174], v[145:146], s[22:23], v[151:152]
	s_mov_b32 s20, 0x2a9d6da3
	s_mov_b32 s16, 0x7c9e640b
	s_mov_b32 s14, 0xeb564b22
	s_mov_b32 s48, 0x923c349f
	s_mov_b32 s46, 0x6c9a05f6
	s_mov_b32 s52, 0x4363dd80
	v_add_f64 v[141:142], v[76:77], v[141:142]
	s_mov_b32 s54, 0xacd6c6b4
	s_mov_b32 s31, 0xbfd71e95
	s_mov_b32 s21, 0x3fe58eea
	s_mov_b32 s43, 0xbfe58eea
	s_mov_b32 s17, 0x3feca52d
	s_mov_b32 s51, 0xbfeca52d
	s_mov_b32 s15, 0x3fefdd0d
	v_add_f64 v[141:142], v[72:73], v[141:142]
	s_mov_b32 s41, 0xbfefdd0d
	s_mov_b32 s49, 0x3feec746
	s_mov_b32 s27, 0xbfeec746
	s_mov_b32 s47, 0x3fe9895b
	s_mov_b32 s29, 0xbfe9895b
	s_mov_b32 s53, 0x3fe0d888
	s_mov_b32 s37, 0xbfe0d888
	v_add_f64 v[141:142], v[68:69], v[141:142]
	s_mov_b32 s55, 0x3fc7851a
	s_mov_b32 s45, 0xbfc7851a
	s_mov_b32 s30, s22
	;; [unrolled: 1-line block ×6, first 2 shown]
	v_add_f64 v[140:141], v[84:85], v[141:142]
	v_mul_f64 v[142:143], v[143:144], s[38:39]
	s_mov_b32 s28, s46
	s_mov_b32 s36, s52
	;; [unrolled: 1-line block ×3, first 2 shown]
	v_mul_f64 v[167:168], v[147:148], s[6:7]
	v_fma_f64 v[151:152], v[145:146], s[30:31], v[151:152]
	v_fma_f64 v[175:176], v[145:146], s[20:21], v[153:154]
	v_add_f64 v[140:141], v[88:89], v[140:141]
	v_fma_f64 v[153:154], v[145:146], s[42:43], v[153:154]
	v_fma_f64 v[177:178], v[145:146], s[16:17], v[155:156]
	;; [unrolled: 1-line block ×7, first 2 shown]
	v_add_f64 v[140:141], v[96:97], v[140:141]
	v_fma_f64 v[183:184], v[145:146], s[46:47], v[161:162]
	v_fma_f64 v[161:162], v[145:146], s[28:29], v[161:162]
	;; [unrolled: 1-line block ×6, first 2 shown]
	v_mul_f64 v[169:170], v[147:148], s[24:25]
	v_add_f64 v[140:141], v[108:109], v[140:141]
	v_fma_f64 v[144:145], v[149:150], s[20:21], v[165:166]
	v_add_f64 v[173:174], v[173:174], v[104:105]
	v_mul_f64 v[171:172], v[147:148], s[38:39]
	v_fma_f64 v[165:166], v[149:150], s[42:43], v[165:166]
	v_fma_f64 v[189:190], v[149:150], s[14:15], v[167:168]
	v_add_f64 v[151:152], v[151:152], v[104:105]
	v_add_f64 v[175:176], v[175:176], v[104:105]
	;; [unrolled: 1-line block ×19, first 2 shown]
	v_fma_f64 v[140:141], v[149:150], s[40:41], v[167:168]
	v_mul_f64 v[167:168], v[147:148], s[34:35]
	v_fma_f64 v[173:174], v[149:150], s[46:47], v[169:170]
	v_fma_f64 v[169:170], v[149:150], s[28:29], v[169:170]
	v_add_f64 v[151:152], v[165:166], v[151:152]
	v_add_f64 v[165:166], v[189:190], v[175:176]
	v_fma_f64 v[175:176], v[149:150], s[54:55], v[171:172]
	v_mul_u32_u24_e32 v137, 0x198, v137
	v_add_f64 v[140:141], v[140:141], v[153:154]
	v_fma_f64 v[153:154], v[149:150], s[44:45], v[171:172]
	v_fma_f64 v[171:172], v[149:150], s[36:37], v[167:168]
	v_add_f64 v[155:156], v[169:170], v[155:156]
	v_mul_f64 v[169:170], v[147:148], s[18:19]
	v_fma_f64 v[167:168], v[149:150], s[52:53], v[167:168]
	v_add_f64 v[173:174], v[173:174], v[177:178]
	v_mul_f64 v[177:178], v[147:148], s[4:5]
	v_mul_f64 v[146:147], v[147:148], s[10:11]
	v_add_f64 v[153:154], v[153:154], v[157:158]
	v_add_f64 v[157:158], v[171:172], v[181:182]
	;; [unrolled: 1-line block ×5, first 2 shown]
	v_fma_f64 v[167:168], v[149:150], s[48:49], v[169:170]
	v_fma_f64 v[179:180], v[149:150], s[26:27], v[169:170]
	;; [unrolled: 1-line block ×3, first 2 shown]
	v_add_f64 v[181:182], v[118:119], -v[114:115]
	v_fma_f64 v[177:178], v[149:150], s[16:17], v[177:178]
	v_mul_f64 v[189:190], v[171:172], s[4:5]
	v_fma_f64 v[191:192], v[149:150], s[30:31], v[146:147]
	v_fma_f64 v[146:147], v[149:150], s[22:23], v[146:147]
	v_add_f64 v[148:149], v[167:168], v[161:162]
	v_mul_f64 v[161:162], v[171:172], s[24:25]
	v_add_f64 v[179:180], v[179:180], v[183:184]
	v_add_f64 v[167:168], v[169:170], v[185:186]
	v_mul_f64 v[183:184], v[171:172], s[38:39]
	v_fma_f64 v[169:170], v[181:182], s[16:17], v[189:190]
	v_add_f64 v[163:164], v[177:178], v[163:164]
	v_add_f64 v[177:178], v[191:192], v[187:188]
	;; [unrolled: 1-line block ×3, first 2 shown]
	v_fma_f64 v[146:147], v[181:182], s[50:51], v[189:190]
	v_fma_f64 v[185:186], v[181:182], s[46:47], v[161:162]
	v_mul_f64 v[187:188], v[171:172], s[18:19]
	v_fma_f64 v[161:162], v[181:182], s[28:29], v[161:162]
	v_add_f64 v[144:145], v[169:170], v[144:145]
	v_mul_f64 v[169:170], v[171:172], s[12:13]
	v_fma_f64 v[189:190], v[181:182], s[44:45], v[183:184]
	v_fma_f64 v[183:184], v[181:182], s[54:55], v[183:184]
	v_add_f64 v[146:147], v[146:147], v[151:152]
	v_add_f64 v[150:151], v[185:186], v[165:166]
	v_fma_f64 v[165:166], v[181:182], s[26:27], v[187:188]
	v_add_f64 v[140:141], v[161:162], v[140:141]
	v_fma_f64 v[161:162], v[181:182], s[48:49], v[187:188]
	v_fma_f64 v[185:186], v[181:182], s[42:43], v[169:170]
	;; [unrolled: 1-line block ×3, first 2 shown]
	v_add_f64 v[155:156], v[183:184], v[155:156]
	v_mul_f64 v[183:184], v[171:172], s[10:11]
	v_add_f64 v[173:174], v[189:190], v[173:174]
	v_add_f64 v[165:166], v[165:166], v[175:176]
	v_mul_f64 v[175:176], v[171:172], s[6:7]
	v_add_f64 v[152:153], v[161:162], v[153:154]
	v_add_f64 v[161:162], v[100:101], v[108:109]
	v_mul_f64 v[171:172], v[171:172], s[34:35]
	v_add_f64 v[159:160], v[169:170], v[159:160]
	v_fma_f64 v[169:170], v[181:182], s[30:31], v[183:184]
	v_add_f64 v[157:158], v[185:186], v[157:158]
	v_fma_f64 v[185:186], v[181:182], s[22:23], v[183:184]
	v_fma_f64 v[183:184], v[181:182], s[14:15], v[175:176]
	;; [unrolled: 1-line block ×3, first 2 shown]
	v_add_f64 v[187:188], v[102:103], -v[110:111]
	v_mul_f64 v[189:190], v[161:162], s[6:7]
	v_fma_f64 v[191:192], v[181:182], s[52:53], v[171:172]
	v_fma_f64 v[171:172], v[181:182], s[36:37], v[171:172]
	v_add_f64 v[148:149], v[169:170], v[148:149]
	v_mul_f64 v[169:170], v[161:162], s[38:39]
	v_mul_f64 v[181:182], v[161:162], s[18:19]
	v_add_f64 v[163:164], v[175:176], v[163:164]
	v_add_f64 v[179:180], v[185:186], v[179:180]
	v_fma_f64 v[175:176], v[187:188], s[14:15], v[189:190]
	v_add_f64 v[167:168], v[183:184], v[167:168]
	v_add_f64 v[142:143], v[171:172], v[142:143]
	v_fma_f64 v[171:172], v[187:188], s[40:41], v[189:190]
	v_fma_f64 v[183:184], v[187:188], s[54:55], v[169:170]
	v_mul_f64 v[185:186], v[161:162], s[10:11]
	v_fma_f64 v[169:170], v[187:188], s[44:45], v[169:170]
	v_fma_f64 v[189:190], v[187:188], s[26:27], v[181:182]
	v_add_f64 v[144:145], v[175:176], v[144:145]
	v_mul_f64 v[175:176], v[161:162], s[4:5]
	v_fma_f64 v[181:182], v[187:188], s[48:49], v[181:182]
	v_add_f64 v[146:147], v[171:172], v[146:147]
	v_add_f64 v[150:151], v[183:184], v[150:151]
	v_fma_f64 v[171:172], v[187:188], s[30:31], v[185:186]
	v_add_f64 v[140:141], v[169:170], v[140:141]
	v_fma_f64 v[169:170], v[187:188], s[22:23], v[185:186]
	;; [unrolled: 2-line block ×3, first 2 shown]
	v_add_f64 v[154:155], v[181:182], v[155:156]
	v_mul_f64 v[181:182], v[161:162], s[34:35]
	v_fma_f64 v[175:176], v[187:188], s[50:51], v[175:176]
	v_add_f64 v[165:166], v[171:172], v[165:166]
	v_mul_f64 v[171:172], v[161:162], s[24:25]
	v_add_f64 v[152:153], v[169:170], v[152:153]
	v_add_f64 v[169:170], v[96:97], v[92:93]
	;; [unrolled: 1-line block ×3, first 2 shown]
	v_mul_f64 v[161:162], v[161:162], s[12:13]
	v_fma_f64 v[183:184], v[187:188], s[52:53], v[181:182]
	v_add_f64 v[158:159], v[175:176], v[159:160]
	v_fma_f64 v[175:176], v[187:188], s[36:37], v[181:182]
	v_fma_f64 v[181:182], v[187:188], s[28:29], v[171:172]
	;; [unrolled: 1-line block ×3, first 2 shown]
	v_add_f64 v[185:186], v[94:95], -v[98:99]
	v_mul_f64 v[189:190], v[169:170], s[18:19]
	v_add_f64 v[177:178], v[191:192], v[177:178]
	v_fma_f64 v[191:192], v[187:188], s[42:43], v[161:162]
	v_fma_f64 v[160:161], v[187:188], s[20:21], v[161:162]
	v_add_f64 v[148:149], v[175:176], v[148:149]
	v_mul_f64 v[175:176], v[169:170], s[34:35]
	v_add_f64 v[167:168], v[181:182], v[167:168]
	v_add_f64 v[162:163], v[171:172], v[163:164]
	v_fma_f64 v[171:172], v[185:186], s[48:49], v[189:190]
	v_mul_f64 v[181:182], v[169:170], s[12:13]
	v_add_f64 v[179:180], v[183:184], v[179:180]
	v_add_f64 v[142:143], v[160:161], v[142:143]
	v_fma_f64 v[160:161], v[185:186], s[26:27], v[189:190]
	v_fma_f64 v[183:184], v[185:186], s[36:37], v[175:176]
	v_mul_f64 v[187:188], v[169:170], s[4:5]
	v_fma_f64 v[175:176], v[185:186], s[52:53], v[175:176]
	v_add_f64 v[144:145], v[171:172], v[144:145]
	v_mul_f64 v[171:172], v[169:170], s[38:39]
	v_fma_f64 v[189:190], v[185:186], s[42:43], v[181:182]
	v_fma_f64 v[181:182], v[185:186], s[20:21], v[181:182]
	v_add_f64 v[146:147], v[160:161], v[146:147]
	v_add_f64 v[150:151], v[183:184], v[150:151]
	v_fma_f64 v[160:161], v[185:186], s[16:17], v[187:188]
	v_add_f64 v[140:141], v[175:176], v[140:141]
	v_fma_f64 v[175:176], v[185:186], s[50:51], v[187:188]
	v_fma_f64 v[183:184], v[185:186], s[54:55], v[171:172]
	;; [unrolled: 1-line block ×3, first 2 shown]
	v_add_f64 v[154:155], v[181:182], v[154:155]
	v_mul_f64 v[181:182], v[169:170], s[6:7]
	v_add_f64 v[177:178], v[191:192], v[177:178]
	v_add_f64 v[160:161], v[160:161], v[165:166]
	v_mul_f64 v[164:165], v[169:170], s[10:11]
	v_add_f64 v[152:153], v[175:176], v[152:153]
	;; [unrolled: 3-line block ×3, first 2 shown]
	v_fma_f64 v[171:172], v[185:186], s[14:15], v[181:182]
	v_add_f64 v[173:174], v[189:190], v[173:174]
	v_add_f64 v[156:157], v[183:184], v[156:157]
	v_fma_f64 v[183:184], v[185:186], s[40:41], v[181:182]
	v_fma_f64 v[181:182], v[185:186], s[22:23], v[164:165]
	;; [unrolled: 1-line block ×3, first 2 shown]
	v_add_f64 v[187:188], v[82:83], -v[90:91]
	v_mul_f64 v[189:190], v[175:176], s[24:25]
	v_fma_f64 v[191:192], v[185:186], s[46:47], v[169:170]
	v_fma_f64 v[169:170], v[185:186], s[28:29], v[169:170]
	v_add_f64 v[148:149], v[171:172], v[148:149]
	v_mul_f64 v[171:172], v[175:176], s[18:19]
	v_add_f64 v[179:180], v[183:184], v[179:180]
	v_add_f64 v[166:167], v[181:182], v[167:168]
	;; [unrolled: 1-line block ×3, first 2 shown]
	v_fma_f64 v[164:165], v[187:188], s[46:47], v[189:190]
	v_mul_f64 v[183:184], v[175:176], s[34:35]
	v_add_f64 v[142:143], v[169:170], v[142:143]
	v_fma_f64 v[168:169], v[187:188], s[28:29], v[189:190]
	v_fma_f64 v[185:186], v[187:188], s[26:27], v[171:172]
	;; [unrolled: 1-line block ×3, first 2 shown]
	v_mul_f64 v[181:182], v[175:176], s[10:11]
	v_add_f64 v[177:178], v[191:192], v[177:178]
	v_add_f64 v[144:145], v[164:165], v[144:145]
	v_mul_f64 v[164:165], v[175:176], s[6:7]
	v_lshlrev_b32_e32 v137, 3, v137
	v_add_f64 v[146:147], v[168:169], v[146:147]
	v_fma_f64 v[168:169], v[187:188], s[52:53], v[183:184]
	v_add_f64 v[140:141], v[170:171], v[140:141]
	v_fma_f64 v[170:171], v[187:188], s[36:37], v[183:184]
	v_fma_f64 v[189:190], v[187:188], s[22:23], v[181:182]
	;; [unrolled: 1-line block ×5, first 2 shown]
	v_add_f64 v[150:151], v[185:186], v[150:151]
	v_add_f64 v[160:161], v[168:169], v[160:161]
	v_mul_f64 v[168:169], v[175:176], s[38:39]
	v_add_f64 v[152:153], v[170:171], v[152:153]
	v_add_f64 v[170:171], v[84:85], v[76:77]
	;; [unrolled: 1-line block ×4, first 2 shown]
	v_mul_f64 v[181:182], v[175:176], s[12:13]
	v_mul_f64 v[174:175], v[175:176], s[4:5]
	v_add_f64 v[158:159], v[164:165], v[158:159]
	v_fma_f64 v[164:165], v[187:188], s[54:55], v[168:169]
	v_fma_f64 v[168:169], v[187:188], s[44:45], v[168:169]
	v_add_f64 v[185:186], v[78:79], -v[86:87]
	v_mul_f64 v[189:190], v[170:171], s[34:35]
	v_add_f64 v[156:157], v[183:184], v[156:157]
	v_fma_f64 v[183:184], v[187:188], s[20:21], v[181:182]
	v_fma_f64 v[181:182], v[187:188], s[42:43], v[181:182]
	;; [unrolled: 1-line block ×4, first 2 shown]
	v_add_f64 v[164:165], v[164:165], v[166:167]
	v_mul_f64 v[166:167], v[170:171], s[4:5]
	v_add_f64 v[162:163], v[168:169], v[162:163]
	v_fma_f64 v[168:169], v[185:186], s[52:53], v[189:190]
	v_add_f64 v[179:180], v[183:184], v[179:180]
	v_add_f64 v[148:149], v[181:182], v[148:149]
	v_mul_f64 v[181:182], v[170:171], s[6:7]
	v_add_f64 v[142:143], v[174:175], v[142:143]
	v_mul_f64 v[174:175], v[170:171], s[24:25]
	v_fma_f64 v[187:188], v[185:186], s[50:51], v[166:167]
	v_fma_f64 v[166:167], v[185:186], s[16:17], v[166:167]
	;; [unrolled: 1-line block ×3, first 2 shown]
	v_add_f64 v[144:145], v[168:169], v[144:145]
	v_mul_f64 v[168:169], v[170:171], s[10:11]
	v_fma_f64 v[189:190], v[185:186], s[14:15], v[181:182]
	v_fma_f64 v[181:182], v[185:186], s[40:41], v[181:182]
	v_add_f64 v[176:177], v[191:192], v[177:178]
	v_add_f64 v[150:151], v[187:188], v[150:151]
	;; [unrolled: 1-line block ×3, first 2 shown]
	v_fma_f64 v[166:167], v[185:186], s[46:47], v[174:175]
	v_add_f64 v[146:147], v[183:184], v[146:147]
	v_fma_f64 v[183:184], v[185:186], s[28:29], v[174:175]
	v_fma_f64 v[174:175], v[185:186], s[22:23], v[168:169]
	v_mul_f64 v[187:188], v[170:171], s[38:39]
	v_add_f64 v[154:155], v[181:182], v[154:155]
	v_fma_f64 v[168:169], v[185:186], s[30:31], v[168:169]
	v_mul_f64 v[181:182], v[170:171], s[12:13]
	v_add_f64 v[152:153], v[166:167], v[152:153]
	v_add_f64 v[166:167], v[68:69], v[72:73]
	;; [unrolled: 1-line block ×4, first 2 shown]
	v_fma_f64 v[174:175], v[185:186], s[54:55], v[187:188]
	v_fma_f64 v[183:184], v[185:186], s[44:45], v[187:188]
	v_mul_f64 v[170:171], v[170:171], s[18:19]
	v_add_f64 v[172:173], v[189:190], v[172:173]
	v_add_f64 v[158:159], v[168:169], v[158:159]
	v_fma_f64 v[168:169], v[185:186], s[42:43], v[181:182]
	v_fma_f64 v[181:182], v[185:186], s[20:21], v[181:182]
	v_add_f64 v[187:188], v[74:75], -v[70:71]
	v_mul_f64 v[189:190], v[166:167], s[38:39]
	v_add_f64 v[174:175], v[174:175], v[179:180]
	v_add_f64 v[148:149], v[183:184], v[148:149]
	v_fma_f64 v[178:179], v[185:186], s[48:49], v[170:171]
	v_mul_f64 v[183:184], v[166:167], s[10:11]
	v_add_f64 v[164:165], v[168:169], v[164:165]
	v_add_f64 v[162:163], v[181:182], v[162:163]
	v_fma_f64 v[168:169], v[185:186], s[26:27], v[170:171]
	v_fma_f64 v[170:171], v[187:188], s[54:55], v[189:190]
	v_mul_f64 v[180:181], v[166:167], s[34:35]
	v_fma_f64 v[185:186], v[187:188], s[44:45], v[189:190]
	v_add_f64 v[176:177], v[178:179], v[176:177]
	v_fma_f64 v[178:179], v[187:188], s[30:31], v[183:184]
	v_mul_f64 v[189:190], v[166:167], s[12:13]
	v_fma_f64 v[182:183], v[187:188], s[22:23], v[183:184]
	v_add_f64 v[142:143], v[168:169], v[142:143]
	v_add_f64 v[144:145], v[170:171], v[144:145]
	v_fma_f64 v[168:169], v[187:188], s[52:53], v[180:181]
	v_fma_f64 v[170:171], v[187:188], s[36:37], v[180:181]
	v_add_f64 v[146:147], v[185:186], v[146:147]
	v_add_f64 v[150:151], v[178:179], v[150:151]
	v_fma_f64 v[178:179], v[187:188], s[42:43], v[189:190]
	v_add_f64 v[140:141], v[182:183], v[140:141]
	v_mul_f64 v[182:183], v[166:167], s[24:25]
	v_fma_f64 v[180:181], v[187:188], s[20:21], v[189:190]
	v_add_f64 v[168:169], v[168:169], v[172:173]
	v_mul_f64 v[172:173], v[166:167], s[4:5]
	v_add_f64 v[154:155], v[170:171], v[154:155]
	v_mul_f64 v[170:171], v[166:167], s[18:19]
	v_mul_f64 v[166:167], v[166:167], s[6:7]
	v_add_f64 v[160:161], v[178:179], v[160:161]
	v_fma_f64 v[178:179], v[187:188], s[46:47], v[182:183]
	v_add_f64 v[152:153], v[180:181], v[152:153]
	v_fma_f64 v[180:181], v[187:188], s[28:29], v[182:183]
	v_fma_f64 v[182:183], v[187:188], s[50:51], v[172:173]
	;; [unrolled: 1-line block ×7, first 2 shown]
	v_add_f64 v[156:157], v[178:179], v[156:157]
	v_add_f64 v[158:159], v[180:181], v[158:159]
	;; [unrolled: 1-line block ×8, first 2 shown]
	v_mul_u32_u24_e32 v166, 0x88, v136
	v_add3_u32 v175, 0, v166, v137
	v_add_u32_e32 v174, 17, v136
	v_cmp_gt_u32_e64 s[0:1], 7, v136
	ds_write2_b64 v175, v[104:105], v[144:145] offset1:1
	ds_write2_b64 v175, v[150:151], v[168:169] offset0:2 offset1:3
	ds_write2_b64 v175, v[160:161], v[156:157] offset0:4 offset1:5
	;; [unrolled: 1-line block ×7, first 2 shown]
	ds_write_b64 v175, v[146:147] offset:128
	s_and_saveexec_b64 s[56:57], s[0:1]
	s_cbranch_execz .LBB0_14
; %bb.13:
	v_add_f64 v[164:165], v[66:67], -v[62:63]
	v_add_f64 v[162:163], v[54:55], -v[58:59]
	v_add_f64 v[156:157], v[60:61], v[64:65]
	v_add_f64 v[160:161], v[42:43], -v[50:51]
	v_add_f64 v[154:155], v[52:53], v[56:57]
	;; [unrolled: 2-line block ×3, first 2 shown]
	v_add_f64 v[152:153], v[26:27], -v[34:35]
	v_mul_f64 v[158:159], v[164:165], s[44:45]
	v_mul_f64 v[170:171], v[162:163], s[22:23]
	;; [unrolled: 1-line block ×6, first 2 shown]
	v_add_f64 v[150:151], v[18:19], -v[22:23]
	v_add_f64 v[148:149], v[24:25], v[32:33]
	v_fma_f64 v[172:173], v[156:157], s[38:39], v[158:159]
	v_fma_f64 v[176:177], v[156:157], s[38:39], -v[158:159]
	v_fma_f64 v[180:181], v[154:155], s[10:11], v[170:171]
	v_fma_f64 v[170:171], v[154:155], s[10:11], -v[170:171]
	v_add_f64 v[158:159], v[44:45], v[28:29]
	v_fma_f64 v[190:191], v[166:167], s[34:35], v[178:179]
	v_fma_f64 v[178:179], v[166:167], s[34:35], -v[178:179]
	v_fma_f64 v[194:195], v[156:157], s[34:35], v[188:189]
	v_add_f64 v[172:173], v[36:37], v[172:173]
	v_add_f64 v[176:177], v[36:37], v[176:177]
	v_fma_f64 v[198:199], v[154:155], s[4:5], v[192:193]
	v_add_f64 v[146:147], v[10:11], -v[14:15]
	v_fma_f64 v[196:197], v[158:159], s[12:13], v[186:187]
	v_fma_f64 v[186:187], v[158:159], s[12:13], -v[186:187]
	v_add_f64 v[144:145], v[20:21], v[16:17]
	v_add_f64 v[194:195], v[36:37], v[194:195]
	;; [unrolled: 1-line block ×4, first 2 shown]
	v_mul_f64 v[180:181], v[152:153], s[28:29]
	v_mul_f64 v[176:177], v[150:151], s[16:17]
	v_add_f64 v[142:143], v[2:3], -v[6:7]
	v_add_f64 v[140:141], v[12:13], v[8:9]
	v_mul_f64 v[184:185], v[146:147], s[26:27]
	v_add_f64 v[194:195], v[198:199], v[194:195]
	v_add_f64 v[172:173], v[190:191], v[172:173]
	;; [unrolled: 1-line block ×3, first 2 shown]
	v_mul_f64 v[190:191], v[160:161], s[40:41]
	v_fma_f64 v[200:201], v[148:149], s[24:25], v[180:181]
	v_fma_f64 v[180:181], v[148:149], s[24:25], -v[180:181]
	v_fma_f64 v[198:199], v[144:145], s[4:5], v[176:177]
	v_fma_f64 v[176:177], v[144:145], s[4:5], -v[176:177]
	v_add_f64 v[104:105], v[4:5], v[0:1]
	v_add_f64 v[172:173], v[196:197], v[172:173]
	;; [unrolled: 1-line block ×3, first 2 shown]
	v_mul_f64 v[196:197], v[168:169], s[46:47]
	v_fma_f64 v[202:203], v[166:167], s[6:7], v[190:191]
	v_mul_f64 v[182:183], v[142:143], s[14:15]
	v_mul_f64 v[186:187], v[146:147], s[20:21]
	v_fma_f64 v[188:189], v[156:157], s[34:35], -v[188:189]
	v_mul_f64 v[178:179], v[142:143], s[26:27]
	v_add_f64 v[172:173], v[200:201], v[172:173]
	v_add_f64 v[170:171], v[180:181], v[170:171]
	v_mul_f64 v[200:201], v[152:153], s[30:31]
	v_fma_f64 v[204:205], v[158:159], s[24:25], v[196:197]
	v_add_f64 v[194:195], v[202:203], v[194:195]
	v_mul_f64 v[180:181], v[150:151], s[44:45]
	v_fma_f64 v[202:203], v[140:141], s[18:19], v[184:185]
	v_fma_f64 v[184:185], v[140:141], s[18:19], -v[184:185]
	v_add_f64 v[172:173], v[198:199], v[172:173]
	v_add_f64 v[170:171], v[176:177], v[170:171]
	v_mul_f64 v[198:199], v[164:165], s[28:29]
	v_fma_f64 v[206:207], v[148:149], s[10:11], v[200:201]
	v_add_f64 v[194:195], v[204:205], v[194:195]
	v_mul_f64 v[176:177], v[162:163], s[48:49]
	v_fma_f64 v[204:205], v[104:105], s[6:7], v[182:183]
	v_fma_f64 v[182:183], v[104:105], s[6:7], -v[182:183]
	v_add_f64 v[172:173], v[202:203], v[172:173]
	v_add_f64 v[184:185], v[184:185], v[170:171]
	v_fma_f64 v[208:209], v[144:145], s[38:39], v[180:181]
	v_fma_f64 v[210:211], v[156:157], s[24:25], v[198:199]
	v_add_f64 v[194:195], v[206:207], v[194:195]
	v_fma_f64 v[206:207], v[140:141], s[12:13], v[186:187]
	v_add_f64 v[188:189], v[36:37], v[188:189]
	;; [unrolled: 2-line block ×3, first 2 shown]
	v_add_f64 v[172:173], v[182:183], v[184:185]
	v_fma_f64 v[182:183], v[154:155], s[4:5], -v[192:193]
	v_fma_f64 v[184:185], v[156:157], s[24:25], -v[198:199]
	v_add_f64 v[192:193], v[208:209], v[194:195]
	v_mul_f64 v[194:195], v[160:161], s[30:31]
	v_fma_f64 v[198:199], v[154:155], s[18:19], v[176:177]
	v_add_f64 v[204:205], v[36:37], v[210:211]
	v_fma_f64 v[190:191], v[166:167], s[6:7], -v[190:191]
	v_fma_f64 v[176:177], v[154:155], s[18:19], -v[176:177]
	v_add_f64 v[182:183], v[182:183], v[188:189]
	v_add_f64 v[184:185], v[36:37], v[184:185]
	;; [unrolled: 1-line block ×3, first 2 shown]
	v_fma_f64 v[192:193], v[158:159], s[24:25], -v[196:197]
	v_mul_f64 v[196:197], v[168:169], s[36:37]
	v_fma_f64 v[206:207], v[166:167], s[10:11], v[194:195]
	v_add_f64 v[198:199], v[198:199], v[204:205]
	v_fma_f64 v[194:195], v[166:167], s[10:11], -v[194:195]
	v_add_f64 v[182:183], v[190:191], v[182:183]
	v_add_f64 v[176:177], v[176:177], v[184:185]
	;; [unrolled: 1-line block ×3, first 2 shown]
	v_fma_f64 v[188:189], v[148:149], s[10:11], -v[200:201]
	v_mul_f64 v[190:191], v[152:153], s[14:15]
	v_fma_f64 v[200:201], v[158:159], s[34:35], v[196:197]
	v_add_f64 v[198:199], v[206:207], v[198:199]
	v_fma_f64 v[196:197], v[158:159], s[34:35], -v[196:197]
	v_add_f64 v[182:183], v[192:193], v[182:183]
	v_add_f64 v[176:177], v[194:195], v[176:177]
	v_mul_f64 v[192:193], v[150:151], s[42:43]
	v_fma_f64 v[180:181], v[144:145], s[38:39], -v[180:181]
	v_fma_f64 v[194:195], v[148:149], s[6:7], v[190:191]
	v_fma_f64 v[190:191], v[148:149], s[6:7], -v[190:191]
	v_add_f64 v[198:199], v[200:201], v[198:199]
	v_fma_f64 v[186:187], v[140:141], s[12:13], -v[186:187]
	v_add_f64 v[182:183], v[188:189], v[182:183]
	v_add_f64 v[176:177], v[196:197], v[176:177]
	v_mul_f64 v[188:189], v[146:147], s[44:45]
	v_mul_f64 v[196:197], v[164:165], s[26:27]
	v_fma_f64 v[200:201], v[144:145], s[12:13], v[192:193]
	v_fma_f64 v[192:193], v[144:145], s[12:13], -v[192:193]
	v_add_f64 v[194:195], v[194:195], v[198:199]
	v_fma_f64 v[178:179], v[104:105], s[18:19], -v[178:179]
	v_add_f64 v[180:181], v[180:181], v[182:183]
	v_add_f64 v[176:177], v[190:191], v[176:177]
	v_mul_f64 v[182:183], v[142:143], s[16:17]
	v_mul_f64 v[190:191], v[162:163], s[52:53]
	v_fma_f64 v[198:199], v[156:157], s[18:19], v[196:197]
	v_fma_f64 v[202:203], v[140:141], s[38:39], v[188:189]
	v_add_f64 v[194:195], v[200:201], v[194:195]
	v_fma_f64 v[188:189], v[140:141], s[38:39], -v[188:189]
	v_add_f64 v[180:181], v[186:187], v[180:181]
	v_add_f64 v[176:177], v[192:193], v[176:177]
	v_mul_f64 v[186:187], v[160:161], s[20:21]
	v_fma_f64 v[192:193], v[154:155], s[34:35], v[190:191]
	v_add_f64 v[198:199], v[36:37], v[198:199]
	v_fma_f64 v[200:201], v[104:105], s[4:5], v[182:183]
	v_add_f64 v[194:195], v[202:203], v[194:195]
	v_fma_f64 v[182:183], v[104:105], s[4:5], -v[182:183]
	v_add_f64 v[178:179], v[178:179], v[180:181]
	v_add_f64 v[176:177], v[188:189], v[176:177]
	v_mul_f64 v[180:181], v[168:169], s[50:51]
	v_fma_f64 v[188:189], v[166:167], s[12:13], v[186:187]
	v_add_f64 v[192:193], v[192:193], v[198:199]
	v_fma_f64 v[196:197], v[156:157], s[18:19], -v[196:197]
	v_add_f64 v[194:195], v[200:201], v[194:195]
	v_mul_f64 v[200:201], v[164:165], s[40:41]
	v_mul_f64 v[204:205], v[162:163], s[44:45]
	v_add_f64 v[176:177], v[182:183], v[176:177]
	v_mul_f64 v[182:183], v[152:153], s[44:45]
	v_fma_f64 v[202:203], v[158:159], s[4:5], v[180:181]
	v_add_f64 v[188:189], v[188:189], v[192:193]
	v_fma_f64 v[190:191], v[154:155], s[34:35], -v[190:191]
	v_add_f64 v[196:197], v[36:37], v[196:197]
	v_fma_f64 v[206:207], v[156:157], s[6:7], v[200:201]
	v_mul_f64 v[208:209], v[150:151], s[14:15]
	v_fma_f64 v[212:213], v[154:155], s[38:39], v[204:205]
	v_fma_f64 v[210:211], v[148:149], s[38:39], v[182:183]
	v_fma_f64 v[186:187], v[166:167], s[12:13], -v[186:187]
	v_add_f64 v[188:189], v[202:203], v[188:189]
	v_mul_f64 v[202:203], v[160:161], s[48:49]
	v_add_f64 v[190:191], v[190:191], v[196:197]
	v_add_f64 v[206:207], v[36:37], v[206:207]
	v_mul_f64 v[214:215], v[146:147], s[30:31]
	v_fma_f64 v[216:217], v[144:145], s[6:7], v[208:209]
	v_mul_f64 v[196:197], v[168:169], s[22:23]
	v_fma_f64 v[200:201], v[156:157], s[6:7], -v[200:201]
	v_add_f64 v[188:189], v[210:211], v[188:189]
	v_fma_f64 v[210:211], v[166:167], s[18:19], v[202:203]
	v_fma_f64 v[180:181], v[158:159], s[4:5], -v[180:181]
	v_add_f64 v[206:207], v[212:213], v[206:207]
	v_add_f64 v[186:187], v[186:187], v[190:191]
	v_mul_f64 v[198:199], v[142:143], s[28:29]
	v_fma_f64 v[212:213], v[140:141], s[10:11], v[214:215]
	v_mul_f64 v[190:191], v[152:153], s[50:51]
	v_add_f64 v[188:189], v[216:217], v[188:189]
	v_fma_f64 v[216:217], v[158:159], s[10:11], v[196:197]
	v_fma_f64 v[204:205], v[154:155], s[38:39], -v[204:205]
	v_add_f64 v[206:207], v[210:211], v[206:207]
	v_add_f64 v[200:201], v[36:37], v[200:201]
	v_fma_f64 v[182:183], v[148:149], s[38:39], -v[182:183]
	v_add_f64 v[180:181], v[180:181], v[186:187]
	v_fma_f64 v[192:193], v[104:105], s[24:25], v[198:199]
	v_add_f64 v[186:187], v[212:213], v[188:189]
	v_mul_f64 v[188:189], v[150:151], s[36:37]
	v_fma_f64 v[210:211], v[148:149], s[4:5], v[190:191]
	v_add_f64 v[206:207], v[216:217], v[206:207]
	v_fma_f64 v[202:203], v[166:167], s[18:19], -v[202:203]
	v_add_f64 v[200:201], v[204:205], v[200:201]
	v_fma_f64 v[204:205], v[144:145], s[6:7], -v[208:209]
	v_add_f64 v[180:181], v[182:183], v[180:181]
	v_add_f64 v[182:183], v[192:193], v[186:187]
	v_mul_f64 v[186:187], v[146:147], s[46:47]
	v_fma_f64 v[192:193], v[144:145], s[34:35], v[188:189]
	v_add_f64 v[206:207], v[210:211], v[206:207]
	v_fma_f64 v[196:197], v[158:159], s[10:11], -v[196:197]
	v_add_f64 v[200:201], v[202:203], v[200:201]
	v_fma_f64 v[202:203], v[140:141], s[10:11], -v[214:215]
	v_add_f64 v[180:181], v[204:205], v[180:181]
	v_mul_f64 v[204:205], v[164:165], s[50:51]
	v_mul_f64 v[208:209], v[142:143], s[20:21]
	v_fma_f64 v[210:211], v[140:141], s[24:25], v[186:187]
	v_add_f64 v[192:193], v[192:193], v[206:207]
	v_fma_f64 v[190:191], v[148:149], s[4:5], -v[190:191]
	v_add_f64 v[196:197], v[196:197], v[200:201]
	v_fma_f64 v[198:199], v[104:105], s[24:25], -v[198:199]
	v_mul_f64 v[200:201], v[162:163], s[28:29]
	v_fma_f64 v[206:207], v[156:157], s[4:5], v[204:205]
	v_add_f64 v[180:181], v[202:203], v[180:181]
	v_fma_f64 v[202:203], v[104:105], s[12:13], v[208:209]
	v_add_f64 v[192:193], v[210:211], v[192:193]
	v_fma_f64 v[188:189], v[144:145], s[34:35], -v[188:189]
	v_add_f64 v[190:191], v[190:191], v[196:197]
	v_mul_f64 v[196:197], v[160:161], s[54:55]
	v_fma_f64 v[210:211], v[154:155], s[24:25], v[200:201]
	v_add_f64 v[206:207], v[36:37], v[206:207]
	v_add_f64 v[180:181], v[198:199], v[180:181]
	v_fma_f64 v[198:199], v[156:157], s[4:5], -v[204:205]
	v_add_f64 v[192:193], v[202:203], v[192:193]
	v_fma_f64 v[200:201], v[154:155], s[24:25], -v[200:201]
	v_fma_f64 v[186:187], v[140:141], s[24:25], -v[186:187]
	v_fma_f64 v[202:203], v[166:167], s[38:39], v[196:197]
	v_add_f64 v[188:189], v[188:189], v[190:191]
	v_add_f64 v[204:205], v[210:211], v[206:207]
	v_fma_f64 v[206:207], v[104:105], s[12:13], -v[208:209]
	v_add_f64 v[198:199], v[36:37], v[198:199]
	v_add_f64 v[208:209], v[36:37], v[64:65]
	v_mul_f64 v[190:191], v[168:169], s[48:49]
	v_fma_f64 v[196:197], v[166:167], s[38:39], -v[196:197]
	v_mul_f64 v[212:213], v[164:165], s[42:43]
	v_add_f64 v[186:187], v[186:187], v[188:189]
	v_add_f64 v[202:203], v[202:203], v[204:205]
	v_mul_f64 v[188:189], v[152:153], s[20:21]
	v_add_f64 v[198:199], v[200:201], v[198:199]
	v_add_f64 v[204:205], v[52:53], v[208:209]
	v_fma_f64 v[210:211], v[158:159], s[18:19], v[190:191]
	v_fma_f64 v[190:191], v[158:159], s[18:19], -v[190:191]
	v_mul_f64 v[208:209], v[150:151], s[30:31]
	v_fma_f64 v[216:217], v[156:157], s[12:13], v[212:213]
	v_mul_f64 v[164:165], v[164:165], s[30:31]
	v_fma_f64 v[214:215], v[148:149], s[12:13], v[188:189]
	v_add_f64 v[196:197], v[196:197], v[198:199]
	v_add_f64 v[204:205], v[40:41], v[204:205]
	;; [unrolled: 1-line block ×3, first 2 shown]
	v_mul_f64 v[210:211], v[162:163], s[40:41]
	v_fma_f64 v[188:189], v[148:149], s[12:13], -v[188:189]
	v_mul_f64 v[198:199], v[146:147], s[40:41]
	v_fma_f64 v[218:219], v[144:145], s[10:11], v[208:209]
	v_add_f64 v[216:217], v[36:37], v[216:217]
	v_add_f64 v[190:191], v[190:191], v[196:197]
	;; [unrolled: 1-line block ×4, first 2 shown]
	v_mul_f64 v[196:197], v[160:161], s[28:29]
	v_fma_f64 v[214:215], v[154:155], s[6:7], v[210:211]
	v_fma_f64 v[208:209], v[144:145], s[10:11], -v[208:209]
	v_fma_f64 v[220:221], v[140:141], s[6:7], v[198:199]
	v_fma_f64 v[198:199], v[140:141], s[6:7], -v[198:199]
	v_add_f64 v[188:189], v[188:189], v[190:191]
	v_add_f64 v[204:205], v[24:25], v[204:205]
	;; [unrolled: 1-line block ×3, first 2 shown]
	v_mul_f64 v[190:191], v[168:169], s[44:45]
	v_fma_f64 v[218:219], v[166:167], s[24:25], v[196:197]
	v_add_f64 v[214:215], v[214:215], v[216:217]
	v_mul_f64 v[162:163], v[162:163], s[42:43]
	v_fma_f64 v[228:229], v[156:157], s[10:11], -v[164:165]
	v_add_f64 v[188:189], v[208:209], v[188:189]
	v_add_f64 v[204:205], v[16:17], v[204:205]
	v_add_f64 v[202:203], v[220:221], v[202:203]
	v_mul_f64 v[208:209], v[152:153], s[52:53]
	v_fma_f64 v[220:221], v[158:159], s[38:39], v[190:191]
	v_add_f64 v[214:215], v[218:219], v[214:215]
	v_fma_f64 v[212:213], v[156:157], s[12:13], -v[212:213]
	v_fma_f64 v[156:157], v[156:157], s[10:11], v[164:165]
	v_add_f64 v[188:189], v[198:199], v[188:189]
	v_add_f64 v[198:199], v[8:9], v[204:205]
	v_mul_f64 v[160:161], v[160:161], s[50:51]
	v_fma_f64 v[204:205], v[148:149], s[34:35], v[208:209]
	v_fma_f64 v[164:165], v[154:155], s[12:13], -v[162:163]
	v_add_f64 v[214:215], v[220:221], v[214:215]
	v_fma_f64 v[210:211], v[154:155], s[6:7], -v[210:211]
	v_add_f64 v[212:213], v[36:37], v[212:213]
	v_fma_f64 v[154:155], v[154:155], s[12:13], v[162:163]
	v_add_f64 v[198:199], v[0:1], v[198:199]
	v_mul_f64 v[168:169], v[168:169], s[40:41]
	v_fma_f64 v[196:197], v[166:167], s[24:25], -v[196:197]
	v_mul_f64 v[152:153], v[152:153], s[26:27]
	v_add_f64 v[204:205], v[204:205], v[214:215]
	v_add_f64 v[214:215], v[36:37], v[228:229]
	;; [unrolled: 1-line block ×3, first 2 shown]
	v_fma_f64 v[156:157], v[166:167], s[4:5], -v[160:161]
	v_add_f64 v[198:199], v[4:5], v[198:199]
	v_fma_f64 v[160:161], v[166:167], s[4:5], v[160:161]
	v_fma_f64 v[190:191], v[158:159], s[38:39], -v[190:191]
	v_mul_f64 v[222:223], v[150:151], s[48:49]
	v_mul_f64 v[150:151], v[150:151], s[28:29]
	v_add_f64 v[162:163], v[164:165], v[214:215]
	v_add_f64 v[36:37], v[154:155], v[36:37]
	v_fma_f64 v[154:155], v[158:159], s[6:7], -v[168:169]
	v_add_f64 v[164:165], v[12:13], v[198:199]
	v_add_f64 v[198:199], v[210:211], v[212:213]
	v_fma_f64 v[158:159], v[158:159], s[6:7], v[168:169]
	v_fma_f64 v[166:167], v[148:149], s[34:35], -v[208:209]
	v_mul_f64 v[218:219], v[146:147], s[16:17]
	v_add_f64 v[156:157], v[156:157], v[162:163]
	v_add_f64 v[36:37], v[160:161], v[36:37]
	v_fma_f64 v[160:161], v[148:149], s[18:19], -v[152:153]
	v_add_f64 v[162:163], v[20:21], v[164:165]
	v_add_f64 v[164:165], v[196:197], v[198:199]
	v_fma_f64 v[148:149], v[148:149], s[18:19], v[152:153]
	v_mul_f64 v[146:147], v[146:147], s[36:37]
	v_fma_f64 v[152:153], v[144:145], s[24:25], -v[150:151]
	v_add_f64 v[154:155], v[154:155], v[156:157]
	v_add_f64 v[36:37], v[158:159], v[36:37]
	v_fma_f64 v[226:227], v[144:145], s[18:19], v[222:223]
	v_add_f64 v[156:157], v[32:33], v[162:163]
	v_add_f64 v[162:163], v[190:191], v[164:165]
	v_fma_f64 v[164:165], v[144:145], s[18:19], -v[222:223]
	v_fma_f64 v[144:145], v[144:145], s[24:25], v[150:151]
	v_mul_f64 v[200:201], v[142:143], s[36:37]
	v_add_f64 v[154:155], v[160:161], v[154:155]
	v_add_f64 v[36:37], v[148:149], v[36:37]
	v_mul_f64 v[220:221], v[142:143], s[22:23]
	v_add_f64 v[156:157], v[44:45], v[156:157]
	v_add_f64 v[158:159], v[166:167], v[162:163]
	v_mul_f64 v[142:143], v[142:143], s[44:45]
	v_fma_f64 v[148:149], v[140:141], s[34:35], -v[146:147]
	v_fma_f64 v[160:161], v[140:141], s[4:5], -v[218:219]
	v_add_f64 v[150:151], v[152:153], v[154:155]
	v_fma_f64 v[224:225], v[140:141], s[4:5], v[218:219]
	v_fma_f64 v[140:141], v[140:141], s[34:35], v[146:147]
	v_add_f64 v[152:153], v[48:49], v[156:157]
	v_add_f64 v[154:155], v[164:165], v[158:159]
	;; [unrolled: 1-line block ×4, first 2 shown]
	v_fma_f64 v[144:145], v[104:105], s[38:39], -v[142:143]
	v_add_f64 v[146:147], v[148:149], v[150:151]
	v_fma_f64 v[216:217], v[104:105], s[34:35], v[200:201]
	v_fma_f64 v[200:201], v[104:105], s[34:35], -v[200:201]
	v_add_f64 v[148:149], v[56:57], v[152:153]
	v_fma_f64 v[158:159], v[104:105], s[10:11], -v[220:221]
	v_add_f64 v[150:151], v[160:161], v[154:155]
	v_fma_f64 v[152:153], v[104:105], s[10:11], v[220:221]
	v_fma_f64 v[104:105], v[104:105], s[38:39], v[142:143]
	v_add_f64 v[36:37], v[140:141], v[36:37]
	v_add_f64 v[154:155], v[224:225], v[156:157]
	v_add_f64 v[142:143], v[144:145], v[146:147]
	v_add_f64 v[144:145], v[60:61], v[148:149]
	v_add_f64 v[140:141], v[200:201], v[188:189]
	v_add_f64 v[146:147], v[158:159], v[150:151]
	v_add_f64 v[148:149], v[206:207], v[186:187]
	v_add_f64 v[150:151], v[216:217], v[202:203]
	v_add_f64 v[36:37], v[104:105], v[36:37]
	v_mul_u32_u24_e32 v104, 0x88, v174
	v_add_f64 v[152:153], v[152:153], v[154:155]
	v_add3_u32 v104, 0, v104, v137
	ds_write2_b64 v104, v[144:145], v[142:143] offset1:1
	ds_write2_b64 v104, v[146:147], v[140:141] offset0:2 offset1:3
	ds_write2_b64 v104, v[148:149], v[180:181] offset0:4 offset1:5
	;; [unrolled: 1-line block ×7, first 2 shown]
	ds_write_b64 v104, v[36:37] offset:128
.LBB0_14:
	s_or_b64 exec, exec, s[56:57]
	v_add_f64 v[36:37], v[134:135], v[106:107]
	v_add_f64 v[104:105], v[132:133], -v[124:125]
	v_add_f64 v[124:125], v[134:135], v[126:127]
	v_add_f64 v[132:133], v[122:123], v[130:131]
	v_add_f64 v[120:121], v[128:129], -v[120:121]
	v_add_f64 v[112:113], v[116:117], -v[112:113]
	v_add_f64 v[128:129], v[118:119], v[114:115]
	v_add_f64 v[100:101], v[100:101], -v[108:109]
	v_add_f64 v[36:37], v[130:131], v[36:37]
	v_mul_f64 v[116:117], v[104:105], s[30:31]
	v_mul_f64 v[130:131], v[104:105], s[42:43]
	;; [unrolled: 1-line block ×7, first 2 shown]
	v_add_f64 v[36:37], v[118:119], v[36:37]
	v_mul_f64 v[104:105], v[104:105], s[44:45]
	v_mul_f64 v[118:119], v[120:121], s[42:43]
	;; [unrolled: 1-line block ×5, first 2 shown]
	v_fma_f64 v[170:171], v[124:125], s[10:11], v[116:117]
	v_fma_f64 v[172:173], v[124:125], s[12:13], v[130:131]
	v_add_f64 v[36:37], v[102:103], v[36:37]
	v_fma_f64 v[130:131], v[124:125], s[12:13], -v[130:131]
	v_fma_f64 v[176:177], v[124:125], s[4:5], v[134:135]
	v_fma_f64 v[134:135], v[124:125], s[4:5], -v[134:135]
	v_fma_f64 v[178:179], v[124:125], s[6:7], v[140:141]
	v_mul_f64 v[154:155], v[120:121], s[52:53]
	v_mul_f64 v[156:157], v[120:121], s[48:49]
	;; [unrolled: 1-line block ×3, first 2 shown]
	v_add_f64 v[36:37], v[94:95], v[36:37]
	v_mul_f64 v[120:121], v[120:121], s[22:23]
	v_mul_f64 v[160:161], v[112:113], s[50:51]
	;; [unrolled: 1-line block ×5, first 2 shown]
	v_fma_f64 v[116:117], v[124:125], s[10:11], -v[116:117]
	v_fma_f64 v[140:141], v[124:125], s[6:7], -v[140:141]
	v_add_f64 v[36:37], v[82:83], v[36:37]
	v_fma_f64 v[180:181], v[124:125], s[18:19], v[142:143]
	v_fma_f64 v[142:143], v[124:125], s[18:19], -v[142:143]
	v_fma_f64 v[182:183], v[124:125], s[24:25], v[144:145]
	v_fma_f64 v[144:145], v[124:125], s[24:25], -v[144:145]
	;; [unrolled: 2-line block ×3, first 2 shown]
	v_fma_f64 v[186:187], v[124:125], s[38:39], v[104:105]
	v_add_f64 v[36:37], v[78:79], v[36:37]
	v_fma_f64 v[104:105], v[124:125], s[38:39], -v[104:105]
	v_fma_f64 v[124:125], v[132:133], s[12:13], v[118:119]
	v_fma_f64 v[188:189], v[132:133], s[6:7], v[148:149]
	v_fma_f64 v[148:149], v[132:133], s[6:7], -v[148:149]
	v_fma_f64 v[190:191], v[132:133], s[24:25], v[150:151]
	v_fma_f64 v[150:151], v[132:133], s[24:25], -v[150:151]
	v_fma_f64 v[192:193], v[132:133], s[38:39], v[152:153]
	v_add_f64 v[36:37], v[74:75], v[36:37]
	v_add_f64 v[170:171], v[170:171], v[106:107]
	v_add_f64 v[130:131], v[130:131], v[106:107]
	v_add_f64 v[176:177], v[176:177], v[106:107]
	v_add_f64 v[134:135], v[134:135], v[106:107]
	v_add_f64 v[178:179], v[178:179], v[106:107]
	v_mul_f64 v[168:169], v[112:113], s[20:21]
	v_fma_f64 v[118:119], v[132:133], s[12:13], -v[118:119]
	v_add_f64 v[36:37], v[70:71], v[36:37]
	v_fma_f64 v[152:153], v[132:133], s[38:39], -v[152:153]
	v_fma_f64 v[194:195], v[132:133], s[34:35], v[154:155]
	v_fma_f64 v[154:155], v[132:133], s[34:35], -v[154:155]
	v_fma_f64 v[196:197], v[132:133], s[18:19], v[156:157]
	;; [unrolled: 2-line block ×3, first 2 shown]
	v_fma_f64 v[158:159], v[132:133], s[4:5], -v[158:159]
	v_add_f64 v[36:37], v[86:87], v[36:37]
	v_fma_f64 v[200:201], v[132:133], s[10:11], v[120:121]
	v_fma_f64 v[120:121], v[132:133], s[10:11], -v[120:121]
	v_fma_f64 v[132:133], v[128:129], s[4:5], v[160:161]
	v_fma_f64 v[202:203], v[128:129], s[24:25], v[162:163]
	v_fma_f64 v[162:163], v[128:129], s[24:25], -v[162:163]
	v_fma_f64 v[204:205], v[128:129], s[38:39], v[164:165]
	v_fma_f64 v[164:165], v[128:129], s[38:39], -v[164:165]
	v_add_f64 v[36:37], v[90:91], v[36:37]
	v_fma_f64 v[206:207], v[128:129], s[18:19], v[166:167]
	v_add_f64 v[116:117], v[116:117], v[106:107]
	v_add_f64 v[172:173], v[172:173], v[106:107]
	;; [unrolled: 1-line block ×24, first 2 shown]
	v_mul_f64 v[130:131], v[112:113], s[30:31]
	v_fma_f64 v[132:133], v[128:129], s[12:13], -v[168:169]
	v_mul_f64 v[108:109], v[112:113], s[36:37]
	v_fma_f64 v[160:161], v[128:129], s[4:5], -v[160:161]
	v_add_f64 v[116:117], v[116:117], v[118:119]
	v_add_f64 v[150:151], v[182:183], v[196:197]
	;; [unrolled: 1-line block ×7, first 2 shown]
	v_mul_f64 v[110:111], v[100:101], s[40:41]
	v_fma_f64 v[154:155], v[128:129], s[34:35], v[108:109]
	v_fma_f64 v[108:109], v[128:129], s[34:35], -v[108:109]
	v_add_f64 v[126:127], v[126:127], v[36:37]
	v_add_f64 v[36:37], v[164:165], v[134:135]
	;; [unrolled: 1-line block ×3, first 2 shown]
	v_mul_f64 v[148:149], v[112:113], s[40:41]
	v_fma_f64 v[112:113], v[128:129], s[10:11], v[130:131]
	v_fma_f64 v[130:131], v[128:129], s[10:11], -v[130:131]
	v_fma_f64 v[166:167], v[128:129], s[18:19], -v[166:167]
	v_fma_f64 v[208:209], v[128:129], s[12:13], v[168:169]
	v_add_f64 v[118:119], v[172:173], v[188:189]
	v_add_f64 v[114:115], v[140:141], v[152:153]
	;; [unrolled: 1-line block ×3, first 2 shown]
	v_fma_f64 v[142:143], v[128:129], s[6:7], v[148:149]
	v_fma_f64 v[148:149], v[128:129], s[6:7], -v[148:149]
	v_add_f64 v[116:117], v[160:161], v[116:117]
	v_add_f64 v[112:113], v[112:113], v[150:151]
	;; [unrolled: 1-line block ×3, first 2 shown]
	v_mul_f64 v[130:131], v[100:101], s[44:45]
	v_add_f64 v[104:105], v[108:109], v[104:105]
	v_fma_f64 v[108:109], v[102:103], s[6:7], -v[110:111]
	v_mul_f64 v[150:151], v[100:101], s[22:23]
	v_add_f64 v[144:145], v[148:149], v[146:147]
	v_fma_f64 v[146:147], v[102:103], s[6:7], v[110:111]
	v_mul_f64 v[148:149], v[100:101], s[48:49]
	v_add_f64 v[140:141], v[180:181], v[194:195]
	v_add_f64 v[118:119], v[202:203], v[118:119]
	;; [unrolled: 1-line block ×3, first 2 shown]
	v_fma_f64 v[110:111], v[102:103], s[38:39], v[130:131]
	v_fma_f64 v[130:131], v[102:103], s[38:39], -v[130:131]
	v_add_f64 v[108:109], v[108:109], v[116:117]
	v_add_f64 v[106:107], v[146:147], v[106:107]
	v_mul_f64 v[146:147], v[100:101], s[50:51]
	v_fma_f64 v[152:153], v[102:103], s[18:19], v[148:149]
	v_fma_f64 v[148:149], v[102:103], s[18:19], -v[148:149]
	v_fma_f64 v[116:117], v[102:103], s[10:11], v[150:151]
	v_add_f64 v[114:115], v[166:167], v[114:115]
	v_add_f64 v[140:141], v[208:209], v[140:141]
	;; [unrolled: 1-line block ×4, first 2 shown]
	v_fma_f64 v[120:121], v[102:103], s[10:11], -v[150:151]
	v_fma_f64 v[130:131], v[102:103], s[4:5], v[146:147]
	v_add_f64 v[36:37], v[148:149], v[36:37]
	v_mul_f64 v[148:149], v[100:101], s[36:37]
	v_fma_f64 v[146:147], v[102:103], s[4:5], -v[146:147]
	v_add_f64 v[116:117], v[116:117], v[134:135]
	v_mul_f64 v[134:135], v[100:101], s[46:47]
	v_add_f64 v[92:93], v[92:93], -v[96:97]
	v_add_f64 v[114:115], v[120:121], v[114:115]
	v_add_f64 v[120:121], v[130:131], v[140:141]
	v_mul_f64 v[96:97], v[100:101], s[20:21]
	v_fma_f64 v[100:101], v[102:103], s[34:35], v[148:149]
	v_add_f64 v[130:131], v[146:147], v[132:133]
	v_fma_f64 v[132:133], v[102:103], s[34:35], -v[148:149]
	v_fma_f64 v[140:141], v[102:103], s[24:25], v[134:135]
	v_fma_f64 v[134:135], v[102:103], s[24:25], -v[134:135]
	v_add_f64 v[94:95], v[98:99], v[94:95]
	v_mul_f64 v[98:99], v[92:93], s[26:27]
	v_fma_f64 v[146:147], v[102:103], s[12:13], v[96:97]
	v_add_f64 v[100:101], v[100:101], v[112:113]
	v_fma_f64 v[96:97], v[102:103], s[12:13], -v[96:97]
	v_add_f64 v[102:103], v[132:133], v[128:129]
	v_mul_f64 v[112:113], v[92:93], s[52:53]
	v_add_f64 v[128:129], v[140:141], v[142:143]
	v_add_f64 v[132:133], v[134:135], v[144:145]
	v_fma_f64 v[134:135], v[94:95], s[18:19], v[98:99]
	v_mul_f64 v[140:141], v[92:93], s[20:21]
	v_fma_f64 v[98:99], v[94:95], s[18:19], -v[98:99]
	v_mul_f64 v[142:143], v[92:93], s[50:51]
	v_add_f64 v[96:97], v[96:97], v[104:105]
	v_fma_f64 v[104:105], v[94:95], s[34:35], v[112:113]
	v_fma_f64 v[112:113], v[94:95], s[34:35], -v[112:113]
	v_add_f64 v[80:81], v[80:81], -v[88:89]
	v_add_f64 v[106:107], v[134:135], v[106:107]
	v_mul_f64 v[134:135], v[92:93], s[44:45]
	v_fma_f64 v[144:145], v[94:95], s[12:13], v[140:141]
	v_fma_f64 v[140:141], v[94:95], s[12:13], -v[140:141]
	v_add_f64 v[98:99], v[98:99], v[108:109]
	v_fma_f64 v[108:109], v[94:95], s[4:5], v[142:143]
	v_add_f64 v[104:105], v[104:105], v[110:111]
	v_add_f64 v[110:111], v[112:113], v[118:119]
	v_fma_f64 v[112:113], v[94:95], s[4:5], -v[142:143]
	v_fma_f64 v[118:119], v[94:95], s[38:39], v[134:135]
	v_fma_f64 v[134:135], v[94:95], s[38:39], -v[134:135]
	v_add_f64 v[36:37], v[140:141], v[36:37]
	v_mul_f64 v[140:141], v[92:93], s[14:15]
	v_add_f64 v[108:109], v[108:109], v[116:117]
	v_mul_f64 v[116:117], v[92:93], s[30:31]
	v_mul_f64 v[88:89], v[92:93], s[28:29]
	v_add_f64 v[112:113], v[112:113], v[114:115]
	v_add_f64 v[114:115], v[118:119], v[120:121]
	;; [unrolled: 1-line block ×4, first 2 shown]
	v_fma_f64 v[92:93], v[94:95], s[6:7], v[140:141]
	v_fma_f64 v[120:121], v[94:95], s[6:7], -v[140:141]
	v_fma_f64 v[130:131], v[94:95], s[10:11], v[116:117]
	v_mul_f64 v[90:91], v[80:81], s[28:29]
	v_fma_f64 v[134:135], v[94:95], s[24:25], v[88:89]
	v_fma_f64 v[88:89], v[94:95], s[24:25], -v[88:89]
	v_fma_f64 v[116:117], v[94:95], s[10:11], -v[116:117]
	v_add_f64 v[122:123], v[186:187], v[200:201]
	v_add_f64 v[92:93], v[92:93], v[100:101]
	;; [unrolled: 1-line block ×4, first 2 shown]
	v_mul_f64 v[102:103], v[80:81], s[48:49]
	v_fma_f64 v[120:121], v[82:83], s[24:25], v[90:91]
	v_mul_f64 v[128:129], v[80:81], s[30:31]
	v_add_f64 v[88:89], v[88:89], v[96:97]
	v_fma_f64 v[90:91], v[82:83], s[24:25], -v[90:91]
	v_mul_f64 v[96:97], v[80:81], s[36:37]
	v_add_f64 v[116:117], v[116:117], v[132:133]
	v_add_f64 v[122:123], v[154:155], v[122:123]
	v_fma_f64 v[130:131], v[82:83], s[18:19], v[102:103]
	v_fma_f64 v[102:103], v[82:83], s[18:19], -v[102:103]
	v_add_f64 v[106:107], v[120:121], v[106:107]
	v_mul_f64 v[120:121], v[80:81], s[14:15]
	v_fma_f64 v[132:133], v[82:83], s[10:11], v[128:129]
	v_fma_f64 v[128:129], v[82:83], s[10:11], -v[128:129]
	v_add_f64 v[90:91], v[90:91], v[98:99]
	v_fma_f64 v[98:99], v[82:83], s[34:35], v[96:97]
	v_fma_f64 v[96:97], v[82:83], s[34:35], -v[96:97]
	v_add_f64 v[102:103], v[102:103], v[110:111]
	v_add_f64 v[76:77], v[76:77], -v[84:85]
	v_fma_f64 v[110:111], v[82:83], s[6:7], v[120:121]
	v_add_f64 v[124:125], v[152:153], v[124:125]
	v_add_f64 v[36:37], v[128:129], v[36:37]
	v_mul_f64 v[128:129], v[80:81], s[42:43]
	v_add_f64 v[98:99], v[98:99], v[108:109]
	v_fma_f64 v[108:109], v[82:83], s[6:7], -v[120:121]
	v_mul_f64 v[120:121], v[80:81], s[44:45]
	v_mul_f64 v[80:81], v[80:81], s[16:17]
	v_add_f64 v[122:123], v[146:147], v[122:123]
	v_add_f64 v[96:97], v[96:97], v[112:113]
	;; [unrolled: 1-line block ×3, first 2 shown]
	v_fma_f64 v[84:85], v[82:83], s[12:13], v[128:129]
	v_fma_f64 v[112:113], v[82:83], s[12:13], -v[128:129]
	v_add_f64 v[108:109], v[108:109], v[118:119]
	v_fma_f64 v[114:115], v[82:83], s[38:39], v[120:121]
	v_fma_f64 v[118:119], v[82:83], s[38:39], -v[120:121]
	v_add_f64 v[78:79], v[86:87], v[78:79]
	v_mul_f64 v[86:87], v[76:77], s[36:37]
	v_fma_f64 v[120:121], v[82:83], s[4:5], v[80:81]
	v_fma_f64 v[80:81], v[82:83], s[4:5], -v[80:81]
	v_add_f64 v[124:125], v[144:145], v[124:125]
	v_add_f64 v[122:123], v[134:135], v[122:123]
	;; [unrolled: 1-line block ×5, first 2 shown]
	v_mul_f64 v[94:95], v[76:77], s[16:17]
	v_add_f64 v[100:101], v[118:119], v[116:117]
	v_fma_f64 v[112:113], v[78:79], s[34:35], v[86:87]
	v_mul_f64 v[116:117], v[76:77], s[40:41]
	v_fma_f64 v[86:87], v[78:79], s[34:35], -v[86:87]
	v_add_f64 v[80:81], v[80:81], v[88:89]
	v_mul_f64 v[88:89], v[76:77], s[46:47]
	v_add_f64 v[104:105], v[130:131], v[104:105]
	v_add_f64 v[124:125], v[132:133], v[124:125]
	;; [unrolled: 1-line block ×3, first 2 shown]
	v_fma_f64 v[118:119], v[78:79], s[4:5], v[94:95]
	v_fma_f64 v[94:95], v[78:79], s[4:5], -v[94:95]
	v_add_f64 v[106:107], v[112:113], v[106:107]
	v_mul_f64 v[112:113], v[76:77], s[30:31]
	v_fma_f64 v[120:121], v[78:79], s[6:7], v[116:117]
	v_add_f64 v[86:87], v[86:87], v[90:91]
	v_fma_f64 v[90:91], v[78:79], s[6:7], -v[116:117]
	v_fma_f64 v[116:117], v[78:79], s[24:25], v[88:89]
	v_add_f64 v[104:105], v[118:119], v[104:105]
	v_add_f64 v[94:95], v[94:95], v[102:103]
	v_fma_f64 v[88:89], v[78:79], s[24:25], -v[88:89]
	v_fma_f64 v[102:103], v[78:79], s[10:11], v[112:113]
	v_add_f64 v[118:119], v[120:121], v[124:125]
	v_mul_f64 v[120:121], v[76:77], s[44:45]
	v_add_f64 v[36:37], v[90:91], v[36:37]
	v_add_f64 v[90:91], v[116:117], v[98:99]
	v_fma_f64 v[98:99], v[78:79], s[10:11], -v[112:113]
	v_mul_f64 v[112:113], v[76:77], s[20:21]
	v_add_f64 v[68:69], v[72:73], -v[68:69]
	v_add_f64 v[88:89], v[88:89], v[96:97]
	v_add_f64 v[96:97], v[102:103], v[110:111]
	v_fma_f64 v[72:73], v[78:79], s[38:39], v[120:121]
	v_fma_f64 v[102:103], v[78:79], s[38:39], -v[120:121]
	v_mul_f64 v[76:77], v[76:77], s[26:27]
	v_add_f64 v[98:99], v[98:99], v[108:109]
	v_fma_f64 v[108:109], v[78:79], s[12:13], v[112:113]
	v_add_f64 v[70:71], v[70:71], v[74:75]
	v_mul_f64 v[74:75], v[68:69], s[44:45]
	v_fma_f64 v[110:111], v[78:79], s[12:13], -v[112:113]
	v_add_f64 v[72:73], v[72:73], v[84:85]
	v_add_f64 v[84:85], v[102:103], v[92:93]
	v_fma_f64 v[92:93], v[78:79], s[18:19], v[76:77]
	v_fma_f64 v[76:77], v[78:79], s[18:19], -v[76:77]
	v_add_f64 v[82:83], v[108:109], v[82:83]
	v_mul_f64 v[108:109], v[68:69], s[36:37]
	v_fma_f64 v[78:79], v[70:71], s[38:39], v[74:75]
	v_fma_f64 v[74:75], v[70:71], s[38:39], -v[74:75]
	v_mul_f64 v[102:103], v[68:69], s[22:23]
	v_mul_f64 v[112:113], v[68:69], s[20:21]
	v_add_f64 v[100:101], v[110:111], v[100:101]
	v_add_f64 v[76:77], v[76:77], v[80:81]
	;; [unrolled: 1-line block ×3, first 2 shown]
	s_waitcnt lgkmcnt(0)
	v_add_f64 v[120:121], v[78:79], v[106:107]
	v_add_f64 v[122:123], v[74:75], v[86:87]
	v_fma_f64 v[74:75], v[70:71], s[34:35], -v[108:109]
	v_fma_f64 v[110:111], v[70:71], s[10:11], v[102:103]
	v_fma_f64 v[102:103], v[70:71], s[10:11], -v[102:103]
	v_fma_f64 v[78:79], v[70:71], s[34:35], v[108:109]
	;; [unrolled: 2-line block ×3, first 2 shown]
	; wave barrier
	v_add_f64 v[130:131], v[74:75], v[36:37]
	v_mul_f64 v[36:37], v[68:69], s[26:27]
	v_add_f64 v[128:129], v[102:103], v[94:95]
	v_mul_f64 v[94:95], v[68:69], s[28:29]
	;; [unrolled: 2-line block ×3, first 2 shown]
	v_mul_f64 v[68:69], v[68:69], s[14:15]
	v_add_f64 v[134:135], v[86:87], v[88:89]
	v_add_f64 v[132:133], v[80:81], v[90:91]
	v_fma_f64 v[88:89], v[70:71], s[18:19], v[36:37]
	v_fma_f64 v[36:37], v[70:71], s[18:19], -v[36:37]
	v_fma_f64 v[74:75], v[70:71], s[24:25], v[94:95]
	v_fma_f64 v[80:81], v[70:71], s[24:25], -v[94:95]
	v_fma_f64 v[86:87], v[70:71], s[4:5], v[78:79]
	v_fma_f64 v[78:79], v[70:71], s[4:5], -v[78:79]
	v_fma_f64 v[90:91], v[70:71], s[6:7], v[68:69]
	v_fma_f64 v[68:69], v[70:71], s[6:7], -v[68:69]
	v_add_f64 v[124:125], v[110:111], v[104:105]
	v_add_f64 v[150:151], v[36:37], v[100:101]
	v_lshlrev_b32_e32 v36, 3, v136
	v_add3_u32 v115, 0, v36, v137
	v_add_u32_e32 v117, 0x400, v115
	v_add_u32_e32 v116, 0x800, v115
	v_add_f64 v[140:141], v[74:75], v[96:97]
	v_add_f64 v[142:143], v[80:81], v[98:99]
	;; [unrolled: 1-line block ×7, first 2 shown]
	v_add3_u32 v114, 0, v137, v36
	ds_read2_b64 v[68:71], v115 offset0:119 offset1:136
	ds_read2_b64 v[84:87], v117 offset0:127 offset1:144
	;; [unrolled: 1-line block ×11, first 2 shown]
	ds_read_b64 v[112:113], v114
	ds_read_b64 v[36:37], v115 offset:3128
	s_waitcnt lgkmcnt(0)
	; wave barrier
	s_waitcnt lgkmcnt(0)
	ds_write2_b64 v175, v[126:127], v[120:121] offset1:1
	ds_write2_b64 v175, v[124:125], v[118:119] offset0:2 offset1:3
	ds_write2_b64 v175, v[132:133], v[140:141] offset0:4 offset1:5
	;; [unrolled: 1-line block ×7, first 2 shown]
	ds_write_b64 v175, v[122:123] offset:128
	s_and_saveexec_b64 s[4:5], s[0:1]
	s_cbranch_execz .LBB0_16
; %bb.15:
	v_add_f64 v[118:119], v[38:39], v[66:67]
	v_add_f64 v[60:61], v[64:65], -v[60:61]
	v_add_f64 v[52:53], v[52:53], -v[56:57]
	s_mov_b32 s22, 0x5d8e7cdc
	s_mov_b32 s38, 0x2a9d6da3
	;; [unrolled: 1-line block ×5, first 2 shown]
	v_add_f64 v[64:65], v[54:55], v[118:119]
	s_mov_b32 s20, 0x6c9a05f6
	s_mov_b32 s26, 0x4363dd80
	;; [unrolled: 1-line block ×7, first 2 shown]
	v_add_f64 v[64:65], v[42:43], v[64:65]
	s_mov_b32 s17, 0xbfeec746
	s_mov_b32 s21, 0xbfe9895b
	;; [unrolled: 1-line block ×4, first 2 shown]
	v_add_f64 v[66:67], v[62:63], v[66:67]
	v_mul_f64 v[118:119], v[60:61], s[38:39]
	v_mul_f64 v[120:121], v[60:61], s[40:41]
	v_add_f64 v[64:65], v[30:31], v[64:65]
	v_mul_f64 v[122:123], v[60:61], s[34:35]
	v_mul_f64 v[124:125], v[60:61], s[16:17]
	;; [unrolled: 1-line block ×4, first 2 shown]
	s_mov_b32 s14, 0x370991
	s_mov_b32 s10, 0x75d4884
	;; [unrolled: 1-line block ×3, first 2 shown]
	v_add_f64 v[64:65], v[26:27], v[64:65]
	s_mov_b32 s12, 0xc61f0d01
	s_mov_b32 s18, 0x6ed5f1bb
	;; [unrolled: 1-line block ×7, first 2 shown]
	v_add_f64 v[64:65], v[18:19], v[64:65]
	s_mov_b32 s13, 0xbfd183b1
	s_mov_b32 s19, 0xbfe348c8
	;; [unrolled: 1-line block ×4, first 2 shown]
	v_add_f64 v[54:55], v[54:55], v[58:59]
	v_mul_f64 v[130:131], v[52:53], s[38:39]
	v_mul_f64 v[132:133], v[52:53], s[34:35]
	v_add_f64 v[56:57], v[10:11], v[64:65]
	v_mul_f64 v[64:65], v[60:61], s[22:23]
	v_mul_f64 v[60:61], v[60:61], s[36:37]
	;; [unrolled: 1-line block ×4, first 2 shown]
	v_fma_f64 v[150:151], v[66:67], s[10:11], v[118:119]
	v_fma_f64 v[118:119], v[66:67], s[10:11], -v[118:119]
	v_fma_f64 v[152:153], v[66:67], s[0:1], v[120:121]
	v_add_f64 v[56:57], v[2:3], v[56:57]
	v_fma_f64 v[148:149], v[66:67], s[14:15], v[64:65]
	v_fma_f64 v[64:65], v[66:67], s[14:15], -v[64:65]
	v_fma_f64 v[120:121], v[66:67], s[0:1], -v[120:121]
	v_fma_f64 v[154:155], v[66:67], s[6:7], v[122:123]
	v_fma_f64 v[122:123], v[66:67], s[6:7], -v[122:123]
	v_fma_f64 v[156:157], v[66:67], s[12:13], v[124:125]
	v_fma_f64 v[124:125], v[66:67], s[12:13], -v[124:125]
	v_add_f64 v[56:57], v[6:7], v[56:57]
	v_fma_f64 v[158:159], v[66:67], s[18:19], v[126:127]
	v_fma_f64 v[126:127], v[66:67], s[18:19], -v[126:127]
	v_fma_f64 v[160:161], v[66:67], s[24:25], v[128:129]
	v_fma_f64 v[128:129], v[66:67], s[24:25], -v[128:129]
	;; [unrolled: 2-line block ×3, first 2 shown]
	s_mov_b32 s49, 0x3fe0d888
	v_add_f64 v[56:57], v[14:15], v[56:57]
	s_mov_b32 s47, 0x3feec746
	s_mov_b32 s31, 0x3feca52d
	;; [unrolled: 1-line block ×5, first 2 shown]
	v_mul_f64 v[142:143], v[52:53], s[48:49]
	v_mul_f64 v[144:145], v[52:53], s[46:47]
	v_add_f64 v[56:57], v[22:23], v[56:57]
	v_mul_f64 v[146:147], v[52:53], s[30:31]
	v_fma_f64 v[66:67], v[54:55], s[10:11], v[130:131]
	v_fma_f64 v[164:165], v[54:55], s[6:7], v[132:133]
	v_fma_f64 v[132:133], v[54:55], s[6:7], -v[132:133]
	v_fma_f64 v[166:167], v[54:55], s[18:19], v[134:135]
	v_fma_f64 v[134:135], v[54:55], s[18:19], -v[134:135]
	v_fma_f64 v[168:169], v[54:55], s[28:29], v[140:141]
	v_add_f64 v[56:57], v[34:35], v[56:57]
	v_fma_f64 v[140:141], v[54:55], s[28:29], -v[140:141]
	v_add_f64 v[148:149], v[38:39], v[148:149]
	v_add_f64 v[64:65], v[38:39], v[64:65]
	;; [unrolled: 1-line block ×18, first 2 shown]
	v_add_f64 v[40:41], v[40:41], -v[48:49]
	s_mov_b32 s43, 0x3fd71e95
	s_mov_b32 s42, s22
	v_add_f64 v[120:121], v[134:135], v[120:121]
	v_add_f64 v[38:39], v[58:59], v[56:57]
	;; [unrolled: 1-line block ×4, first 2 shown]
	v_fma_f64 v[132:133], v[54:55], s[24:25], -v[142:143]
	v_fma_f64 v[134:135], v[54:55], s[12:13], -v[144:145]
	v_mul_f64 v[52:53], v[52:53], s[42:43]
	v_add_f64 v[42:43], v[42:43], v[50:51]
	v_mul_f64 v[50:51], v[40:41], s[40:41]
	v_add_f64 v[38:39], v[62:63], v[38:39]
	v_add_f64 v[62:63], v[140:141], v[122:123]
	v_fma_f64 v[140:141], v[54:55], s[0:1], v[146:147]
	v_fma_f64 v[130:131], v[54:55], s[10:11], -v[130:131]
	v_fma_f64 v[170:171], v[54:55], s[24:25], v[142:143]
	v_fma_f64 v[48:49], v[54:55], s[12:13], v[144:145]
	v_fma_f64 v[142:143], v[54:55], s[0:1], -v[146:147]
	v_add_f64 v[124:125], v[132:133], v[124:125]
	v_add_f64 v[126:127], v[134:135], v[126:127]
	v_fma_f64 v[134:135], v[54:55], s[14:15], v[52:53]
	v_add_f64 v[132:133], v[140:141], v[160:161]
	v_fma_f64 v[52:53], v[54:55], s[14:15], -v[52:53]
	v_fma_f64 v[54:55], v[42:43], s[0:1], v[50:51]
	v_mul_f64 v[140:141], v[40:41], s[20:21]
	s_mov_b32 s45, 0x3fc7851a
	s_mov_b32 s44, s36
	v_add_f64 v[58:59], v[130:131], v[64:65]
	v_add_f64 v[64:65], v[164:165], v[150:151]
	;; [unrolled: 1-line block ×3, first 2 shown]
	v_mul_f64 v[142:143], v[40:41], s[44:45]
	v_add_f64 v[52:53], v[52:53], v[60:61]
	v_add_f64 v[54:55], v[54:55], v[56:57]
	v_fma_f64 v[50:51], v[42:43], s[0:1], -v[50:51]
	v_fma_f64 v[56:57], v[42:43], s[18:19], v[140:141]
	v_mul_f64 v[60:61], v[40:41], s[46:47]
	v_fma_f64 v[140:141], v[42:43], s[18:19], -v[140:141]
	s_mov_b32 s45, 0x3fe58eea
	s_mov_b32 s44, s38
	v_add_f64 v[118:119], v[166:167], v[152:153]
	v_add_f64 v[130:131], v[168:169], v[154:155]
	v_fma_f64 v[144:145], v[42:43], s[28:29], v[142:143]
	v_mul_f64 v[146:147], v[40:41], s[44:45]
	v_add_f64 v[50:51], v[50:51], v[58:59]
	v_fma_f64 v[58:59], v[42:43], s[28:29], -v[142:143]
	v_fma_f64 v[142:143], v[42:43], s[12:13], v[60:61]
	v_add_f64 v[56:57], v[56:57], v[64:65]
	v_add_f64 v[64:65], v[140:141], v[66:67]
	v_fma_f64 v[60:61], v[42:43], s[12:13], -v[60:61]
	v_mul_f64 v[140:141], v[40:41], s[22:23]
	v_add_f64 v[122:123], v[170:171], v[156:157]
	v_add_f64 v[48:49], v[48:49], v[158:159]
	;; [unrolled: 1-line block ×3, first 2 shown]
	v_fma_f64 v[118:119], v[42:43], s[10:11], v[146:147]
	v_add_f64 v[58:59], v[58:59], v[120:121]
	v_add_f64 v[120:121], v[142:143], v[130:131]
	v_mul_f64 v[130:131], v[40:41], s[34:35]
	v_add_f64 v[60:61], v[60:61], v[62:63]
	v_add_f64 v[28:29], v[28:29], -v[44:45]
	v_fma_f64 v[62:63], v[42:43], s[14:15], v[140:141]
	v_mul_f64 v[40:41], v[40:41], s[26:27]
	v_fma_f64 v[142:143], v[42:43], s[10:11], -v[146:147]
	v_add_f64 v[44:45], v[118:119], v[122:123]
	v_fma_f64 v[118:119], v[42:43], s[14:15], -v[140:141]
	v_fma_f64 v[122:123], v[42:43], s[6:7], v[130:131]
	v_add_f64 v[30:31], v[46:47], v[30:31]
	v_mul_f64 v[46:47], v[28:29], s[34:35]
	v_fma_f64 v[130:131], v[42:43], s[6:7], -v[130:131]
	v_add_f64 v[48:49], v[62:63], v[48:49]
	v_fma_f64 v[62:63], v[42:43], s[24:25], v[40:41]
	v_fma_f64 v[40:41], v[42:43], s[24:25], -v[40:41]
	v_mul_f64 v[42:43], v[28:29], s[36:37]
	v_add_f64 v[134:135], v[134:135], v[162:163]
	v_add_f64 v[118:119], v[118:119], v[126:127]
	;; [unrolled: 1-line block ×3, first 2 shown]
	v_fma_f64 v[126:127], v[30:31], s[6:7], v[46:47]
	v_add_f64 v[128:129], v[130:131], v[128:129]
	v_mul_f64 v[130:131], v[28:29], s[46:47]
	v_fma_f64 v[46:47], v[30:31], s[6:7], -v[46:47]
	v_mul_f64 v[132:133], v[28:29], s[42:43]
	v_add_f64 v[40:41], v[40:41], v[52:53]
	v_fma_f64 v[52:53], v[30:31], s[28:29], v[42:43]
	v_add_f64 v[62:63], v[62:63], v[134:135]
	v_add_f64 v[54:55], v[126:127], v[54:55]
	v_fma_f64 v[42:43], v[30:31], s[28:29], -v[42:43]
	v_fma_f64 v[126:127], v[30:31], s[12:13], v[130:131]
	v_fma_f64 v[130:131], v[30:31], s[12:13], -v[130:131]
	v_add_f64 v[46:47], v[46:47], v[50:51]
	v_fma_f64 v[50:51], v[30:31], s[14:15], v[132:133]
	v_mul_f64 v[134:135], v[28:29], s[40:41]
	v_add_f64 v[52:53], v[52:53], v[56:57]
	v_mul_f64 v[56:57], v[28:29], s[26:27]
	s_mov_b32 s51, 0x3fe9895b
	s_mov_b32 s50, s20
	v_add_f64 v[124:125], v[142:143], v[124:125]
	v_add_f64 v[42:43], v[42:43], v[64:65]
	;; [unrolled: 1-line block ×4, first 2 shown]
	v_fma_f64 v[66:67], v[30:31], s[14:15], -v[132:133]
	v_add_f64 v[50:51], v[50:51], v[120:121]
	v_fma_f64 v[120:121], v[30:31], s[0:1], v[134:135]
	v_fma_f64 v[126:127], v[30:31], s[0:1], -v[134:135]
	v_fma_f64 v[130:131], v[30:31], s[24:25], v[56:57]
	v_mul_f64 v[132:133], v[28:29], s[50:51]
	v_mul_f64 v[28:29], v[28:29], s[44:45]
	v_add_f64 v[24:25], v[24:25], -v[32:33]
	v_fma_f64 v[56:57], v[30:31], s[24:25], -v[56:57]
	v_add_f64 v[60:61], v[66:67], v[60:61]
	v_add_f64 v[44:45], v[120:121], v[44:45]
	;; [unrolled: 1-line block ×4, first 2 shown]
	v_fma_f64 v[66:67], v[30:31], s[18:19], v[132:133]
	v_fma_f64 v[120:121], v[30:31], s[18:19], -v[132:133]
	v_fma_f64 v[124:125], v[30:31], s[10:11], v[28:29]
	v_mul_f64 v[34:35], v[24:25], s[16:17]
	v_fma_f64 v[28:29], v[30:31], s[10:11], -v[28:29]
	v_add_f64 v[30:31], v[56:57], v[118:119]
	v_mul_f64 v[56:57], v[24:25], s[48:49]
	v_mul_f64 v[118:119], v[24:25], s[44:45]
	v_add_f64 v[66:67], v[66:67], v[122:123]
	v_mul_f64 v[126:127], v[24:25], s[40:41]
	v_add_f64 v[62:63], v[124:125], v[62:63]
	v_fma_f64 v[122:123], v[26:27], s[12:13], v[34:35]
	v_add_f64 v[28:29], v[28:29], v[40:41]
	v_fma_f64 v[34:35], v[26:27], s[12:13], -v[34:35]
	v_fma_f64 v[40:41], v[26:27], s[24:25], v[56:57]
	v_fma_f64 v[56:57], v[26:27], s[24:25], -v[56:57]
	v_fma_f64 v[124:125], v[26:27], s[10:11], v[118:119]
	v_fma_f64 v[118:119], v[26:27], s[10:11], -v[118:119]
	s_mov_b32 s41, 0x3fefdd0d
	v_add_f64 v[54:55], v[122:123], v[54:55]
	v_mul_f64 v[122:123], v[24:25], s[36:37]
	s_mov_b32 s40, s34
	v_add_f64 v[40:41], v[40:41], v[52:53]
	v_fma_f64 v[52:53], v[26:27], s[0:1], v[126:127]
	v_add_f64 v[34:35], v[34:35], v[46:47]
	v_add_f64 v[42:43], v[56:57], v[42:43]
	;; [unrolled: 1-line block ×4, first 2 shown]
	v_fma_f64 v[58:59], v[26:27], s[0:1], -v[126:127]
	v_fma_f64 v[64:65], v[26:27], s[28:29], v[122:123]
	v_mul_f64 v[118:119], v[24:25], s[40:41]
	v_add_f64 v[50:51], v[52:53], v[50:51]
	v_mul_f64 v[52:53], v[24:25], s[22:23]
	v_add_f64 v[16:17], v[16:17], -v[20:21]
	v_mul_f64 v[20:21], v[24:25], s[20:21]
	v_add_f64 v[48:49], v[130:131], v[48:49]
	v_add_f64 v[58:59], v[58:59], v[60:61]
	;; [unrolled: 1-line block ×3, first 2 shown]
	v_fma_f64 v[24:25], v[26:27], s[6:7], v[118:119]
	v_fma_f64 v[60:61], v[26:27], s[6:7], -v[118:119]
	v_fma_f64 v[64:65], v[26:27], s[14:15], v[52:53]
	v_add_f64 v[18:19], v[22:23], v[18:19]
	v_mul_f64 v[22:23], v[16:17], s[20:21]
	v_fma_f64 v[118:119], v[26:27], s[18:19], v[20:21]
	v_fma_f64 v[20:21], v[26:27], s[18:19], -v[20:21]
	v_fma_f64 v[122:123], v[26:27], s[28:29], -v[122:123]
	;; [unrolled: 1-line block ×3, first 2 shown]
	v_add_f64 v[24:25], v[24:25], v[48:49]
	v_add_f64 v[26:27], v[60:61], v[30:31]
	;; [unrolled: 1-line block ×3, first 2 shown]
	v_mul_f64 v[48:49], v[16:17], s[46:47]
	v_fma_f64 v[60:61], v[18:19], s[18:19], v[22:23]
	v_mul_f64 v[64:65], v[16:17], s[22:23]
	v_add_f64 v[20:21], v[20:21], v[28:29]
	v_fma_f64 v[22:23], v[18:19], s[18:19], -v[22:23]
	v_mul_f64 v[28:29], v[16:17], s[26:27]
	v_add_f64 v[62:63], v[118:119], v[62:63]
	v_add_f64 v[8:9], v[8:9], -v[12:13]
	v_fma_f64 v[66:67], v[18:19], s[12:13], v[48:49]
	v_fma_f64 v[48:49], v[18:19], s[12:13], -v[48:49]
	v_add_f64 v[54:55], v[60:61], v[54:55]
	v_mul_f64 v[60:61], v[16:17], s[40:41]
	v_fma_f64 v[118:119], v[18:19], s[14:15], v[64:65]
	v_fma_f64 v[64:65], v[18:19], s[14:15], -v[64:65]
	v_add_f64 v[22:23], v[22:23], v[34:35]
	v_fma_f64 v[34:35], v[18:19], s[24:25], v[28:29]
	v_add_f64 v[120:121], v[120:121], v[128:129]
	v_add_f64 v[42:43], v[48:49], v[42:43]
	;; [unrolled: 1-line block ×3, first 2 shown]
	v_fma_f64 v[48:49], v[18:19], s[6:7], v[60:61]
	v_fma_f64 v[28:29], v[18:19], s[24:25], -v[28:29]
	v_add_f64 v[56:57], v[64:65], v[56:57]
	v_mul_f64 v[64:65], v[16:17], s[38:39]
	v_add_f64 v[34:35], v[34:35], v[50:51]
	v_fma_f64 v[50:51], v[18:19], s[6:7], -v[60:61]
	v_mul_f64 v[60:61], v[16:17], s[36:37]
	v_mul_f64 v[12:13], v[16:17], s[30:31]
	v_add_f64 v[44:45], v[48:49], v[44:45]
	v_add_f64 v[10:11], v[14:15], v[10:11]
	v_mul_f64 v[14:15], v[8:9], s[26:27]
	v_fma_f64 v[16:17], v[18:19], s[10:11], v[64:65]
	v_fma_f64 v[48:49], v[18:19], s[10:11], -v[64:65]
	v_add_f64 v[52:53], v[52:53], v[120:121]
	v_add_f64 v[28:29], v[28:29], v[58:59]
	;; [unrolled: 1-line block ×3, first 2 shown]
	v_fma_f64 v[50:51], v[18:19], s[28:29], v[60:61]
	v_fma_f64 v[58:59], v[18:19], s[28:29], -v[60:61]
	v_fma_f64 v[60:61], v[18:19], s[0:1], v[12:13]
	v_fma_f64 v[12:13], v[18:19], s[0:1], -v[12:13]
	v_add_f64 v[16:17], v[16:17], v[24:25]
	v_add_f64 v[24:25], v[48:49], v[26:27]
	v_mul_f64 v[26:27], v[8:9], s[30:31]
	v_fma_f64 v[48:49], v[10:11], s[24:25], v[14:15]
	v_add_f64 v[18:19], v[50:51], v[30:31]
	v_add_f64 v[30:31], v[58:59], v[52:53]
	v_mul_f64 v[52:53], v[8:9], s[34:35]
	v_fma_f64 v[14:15], v[10:11], s[24:25], -v[14:15]
	v_add_f64 v[12:13], v[12:13], v[20:21]
	v_mul_f64 v[20:21], v[8:9], s[50:51]
	v_add_f64 v[40:41], v[66:67], v[40:41]
	v_fma_f64 v[58:59], v[10:11], s[0:1], v[26:27]
	v_fma_f64 v[26:27], v[10:11], s[0:1], -v[26:27]
	v_add_f64 v[48:49], v[48:49], v[54:55]
	v_mul_f64 v[54:55], v[8:9], s[22:23]
	v_add_f64 v[50:51], v[60:61], v[62:63]
	v_fma_f64 v[60:61], v[10:11], s[6:7], v[52:53]
	v_add_f64 v[14:15], v[14:15], v[22:23]
	v_fma_f64 v[22:23], v[10:11], s[6:7], -v[52:53]
	v_fma_f64 v[52:53], v[10:11], s[18:19], v[20:21]
	v_add_f64 v[40:41], v[58:59], v[40:41]
	v_add_f64 v[26:27], v[26:27], v[42:43]
	v_fma_f64 v[20:21], v[10:11], s[18:19], -v[20:21]
	v_fma_f64 v[42:43], v[10:11], s[14:15], v[54:55]
	v_mul_f64 v[58:59], v[8:9], s[36:37]
	v_add_f64 v[0:1], v[0:1], -v[4:5]
	v_add_f64 v[2:3], v[6:7], v[2:3]
	v_add_f64 v[34:35], v[52:53], v[34:35]
	v_fma_f64 v[52:53], v[10:11], s[14:15], -v[54:55]
	v_mul_f64 v[54:55], v[8:9], s[44:45]
	v_add_f64 v[20:21], v[20:21], v[28:29]
	v_add_f64 v[28:29], v[42:43], v[44:45]
	v_fma_f64 v[4:5], v[10:11], s[28:29], v[58:59]
	v_fma_f64 v[42:43], v[10:11], s[28:29], -v[58:59]
	v_mul_f64 v[8:9], v[8:9], s[16:17]
	v_mul_f64 v[6:7], v[0:1], s[36:37]
	v_add_f64 v[32:33], v[52:53], v[32:33]
	v_fma_f64 v[44:45], v[10:11], s[10:11], v[54:55]
	v_fma_f64 v[52:53], v[10:11], s[10:11], -v[54:55]
	v_add_f64 v[46:47], v[118:119], v[46:47]
	v_add_f64 v[4:5], v[4:5], v[16:17]
	;; [unrolled: 1-line block ×3, first 2 shown]
	v_fma_f64 v[24:25], v[10:11], s[12:13], v[8:9]
	v_mul_f64 v[42:43], v[0:1], s[42:43]
	v_fma_f64 v[8:9], v[10:11], s[12:13], -v[8:9]
	v_add_f64 v[18:19], v[44:45], v[18:19]
	v_fma_f64 v[10:11], v[2:3], s[28:29], v[6:7]
	v_mul_f64 v[44:45], v[0:1], s[26:27]
	v_fma_f64 v[6:7], v[2:3], s[28:29], -v[6:7]
	v_add_f64 v[30:31], v[52:53], v[30:31]
	v_add_f64 v[24:25], v[24:25], v[50:51]
	v_fma_f64 v[50:51], v[2:3], s[14:15], v[42:43]
	v_fma_f64 v[42:43], v[2:3], s[14:15], -v[42:43]
	v_mul_f64 v[52:53], v[0:1], s[44:45]
	v_add_f64 v[46:47], v[60:61], v[46:47]
	v_add_f64 v[22:23], v[22:23], v[56:57]
	;; [unrolled: 1-line block ×3, first 2 shown]
	v_fma_f64 v[12:13], v[2:3], s[24:25], v[44:45]
	v_add_f64 v[6:7], v[6:7], v[14:15]
	v_fma_f64 v[14:15], v[2:3], s[24:25], -v[44:45]
	v_add_f64 v[10:11], v[10:11], v[48:49]
	v_add_f64 v[26:27], v[42:43], v[26:27]
	v_fma_f64 v[42:43], v[2:3], s[10:11], v[52:53]
	v_mul_f64 v[48:49], v[0:1], s[20:21]
	v_fma_f64 v[44:45], v[2:3], s[10:11], -v[52:53]
	v_add_f64 v[12:13], v[12:13], v[46:47]
	v_mul_f64 v[46:47], v[0:1], s[30:31]
	v_add_f64 v[14:15], v[14:15], v[22:23]
	v_mul_f64 v[22:23], v[0:1], s[16:17]
	v_mul_f64 v[0:1], v[0:1], s[40:41]
	v_add_f64 v[34:35], v[42:43], v[34:35]
	v_fma_f64 v[42:43], v[2:3], s[18:19], v[48:49]
	v_add_f64 v[40:41], v[50:51], v[40:41]
	v_add_f64 v[20:21], v[44:45], v[20:21]
	v_fma_f64 v[44:45], v[2:3], s[18:19], -v[48:49]
	v_fma_f64 v[48:49], v[2:3], s[0:1], v[46:47]
	v_fma_f64 v[50:51], v[2:3], s[12:13], v[22:23]
	;; [unrolled: 1-line block ×3, first 2 shown]
	v_fma_f64 v[0:1], v[2:3], s[6:7], -v[0:1]
	v_fma_f64 v[46:47], v[2:3], s[0:1], -v[46:47]
	;; [unrolled: 1-line block ×3, first 2 shown]
	v_add_f64 v[22:23], v[42:43], v[28:29]
	v_add_f64 v[28:29], v[44:45], v[32:33]
	;; [unrolled: 1-line block ×8, first 2 shown]
	v_mul_u32_u24_e32 v8, 0x88, v174
	v_add3_u32 v8, 0, v8, v137
	ds_write2_b64 v8, v[38:39], v[10:11] offset1:1
	ds_write2_b64 v8, v[40:41], v[12:13] offset0:2 offset1:3
	ds_write2_b64 v8, v[34:35], v[22:23] offset0:4 offset1:5
	;; [unrolled: 1-line block ×7, first 2 shown]
	ds_write_b64 v8, v[6:7] offset:128
.LBB0_16:
	s_or_b64 exec, exec, s[4:5]
	v_lshlrev_b32_e32 v44, 1, v136
	v_mov_b32_e32 v45, 0
	v_lshlrev_b64 v[0:1], 4, v[44:45]
	v_mov_b32_e32 v2, s9
	v_add_co_u32_e64 v8, s[0:1], s8, v0
	v_addc_co_u32_e64 v9, s[0:1], v2, v1, s[0:1]
	v_add_u32_e32 v50, 34, v136
	s_movk_i32 s0, 0xf1
	s_waitcnt lgkmcnt(0)
	; wave barrier
	s_waitcnt lgkmcnt(0)
	global_load_dwordx4 v[0:3], v[8:9], off offset:16
	global_load_dwordx4 v[4:7], v[8:9], off
	v_mul_lo_u16_sdwa v8, v50, s0 dst_sel:DWORD dst_unused:UNUSED_PAD src0_sel:BYTE_0 src1_sel:DWORD
	v_lshrrev_b16_e32 v8, 12, v8
	v_mul_lo_u16_e32 v8, 17, v8
	v_sub_u16_e32 v44, v50, v8
	v_mov_b32_e32 v42, 5
	v_lshlrev_b32_sdwa v16, v42, v44 dst_sel:DWORD dst_unused:UNUSED_PAD src0_sel:DWORD src1_sel:BYTE_0
	global_load_dwordx4 v[8:11], v16, s[8:9]
	global_load_dwordx4 v[12:15], v16, s[8:9] offset:16
	v_add_u16_e32 v16, 51, v136
	v_mul_lo_u16_sdwa v17, v16, s0 dst_sel:DWORD dst_unused:UNUSED_PAD src0_sel:BYTE_0 src1_sel:DWORD
	v_lshrrev_b16_e32 v17, 12, v17
	v_mul_lo_u16_e32 v17, 17, v17
	v_sub_u16_e32 v181, v16, v17
	v_lshlrev_b32_sdwa v24, v42, v181 dst_sel:DWORD dst_unused:UNUSED_PAD src0_sel:DWORD src1_sel:BYTE_0
	global_load_dwordx4 v[16:19], v24, s[8:9] offset:16
	global_load_dwordx4 v[20:23], v24, s[8:9]
	v_add_u16_e32 v24, 0x44, v136
	v_mul_lo_u16_sdwa v25, v24, s0 dst_sel:DWORD dst_unused:UNUSED_PAD src0_sel:BYTE_0 src1_sel:DWORD
	v_lshrrev_b16_e32 v25, 12, v25
	v_mul_lo_u16_e32 v25, 17, v25
	v_sub_u16_e32 v182, v24, v25
	v_lshlrev_b32_sdwa v32, v42, v182 dst_sel:DWORD dst_unused:UNUSED_PAD src0_sel:DWORD src1_sel:BYTE_0
	global_load_dwordx4 v[24:27], v32, s[8:9]
	global_load_dwordx4 v[28:31], v32, s[8:9] offset:16
	v_add_u16_e32 v32, 0x55, v136
	v_mul_lo_u16_sdwa v33, v32, s0 dst_sel:DWORD dst_unused:UNUSED_PAD src0_sel:BYTE_0 src1_sel:DWORD
	v_lshrrev_b16_e32 v33, 12, v33
	v_mul_lo_u16_e32 v33, 17, v33
	v_sub_u16_e32 v183, v32, v33
	v_lshlrev_b32_sdwa v43, v42, v183 dst_sel:DWORD dst_unused:UNUSED_PAD src0_sel:DWORD src1_sel:BYTE_0
	global_load_dwordx4 v[32:35], v43, s[8:9] offset:16
	global_load_dwordx4 v[38:41], v43, s[8:9]
	v_add_u16_e32 v43, 0x66, v136
	v_mul_lo_u16_sdwa v46, v43, s0 dst_sel:DWORD dst_unused:UNUSED_PAD src0_sel:BYTE_0 src1_sel:DWORD
	v_lshrrev_b16_e32 v46, 12, v46
	v_mul_lo_u16_e32 v46, 17, v46
	v_sub_u16_e32 v184, v43, v46
	v_lshlrev_b32_sdwa v43, v42, v184 dst_sel:DWORD dst_unused:UNUSED_PAD src0_sel:DWORD src1_sel:BYTE_0
	global_load_dwordx4 v[46:49], v43, s[8:9]
	global_load_dwordx4 v[51:54], v43, s[8:9] offset:16
	v_add_u16_e32 v43, 0x77, v136
	v_mul_lo_u16_sdwa v55, v43, s0 dst_sel:DWORD dst_unused:UNUSED_PAD src0_sel:BYTE_0 src1_sel:DWORD
	v_lshrrev_b16_e32 v55, 12, v55
	v_mul_lo_u16_e32 v55, 17, v55
	v_sub_u16_e32 v185, v43, v55
	v_lshlrev_b32_sdwa v42, v42, v185 dst_sel:DWORD dst_unused:UNUSED_PAD src0_sel:DWORD src1_sel:BYTE_0
	global_load_dwordx4 v[55:58], v42, s[8:9]
	global_load_dwordx4 v[59:62], v42, s[8:9] offset:16
	ds_read2_b64 v[63:66], v115 offset0:119 offset1:136
	ds_read2_b64 v[118:121], v117 offset0:127 offset1:144
	;; [unrolled: 1-line block ×11, first 2 shown]
	ds_read_b64 v[42:43], v114
	ds_read_b64 v[134:135], v115 offset:3128
	s_mov_b32 s0, 0xe8584caa
	s_mov_b32 s1, 0x3febb67a
	;; [unrolled: 1-line block ×4, first 2 shown]
	s_waitcnt lgkmcnt(0)
	; wave barrier
	s_waitcnt vmcnt(13) lgkmcnt(0)
	v_mul_f64 v[168:169], v[120:121], v[2:3]
	s_waitcnt vmcnt(12)
	v_mul_f64 v[164:165], v[65:66], v[6:7]
	v_mul_f64 v[166:167], v[70:71], v[6:7]
	;; [unrolled: 1-line block ×7, first 2 shown]
	s_waitcnt vmcnt(11)
	v_mul_f64 v[177:178], v[128:129], v[10:11]
	v_mul_f64 v[10:11], v[110:111], v[10:11]
	s_waitcnt vmcnt(10)
	v_mul_f64 v[179:180], v[132:133], v[14:15]
	v_mul_f64 v[14:15], v[106:107], v[14:15]
	v_fma_f64 v[70:71], v[70:71], v[4:5], -v[164:165]
	v_fma_f64 v[65:66], v[65:66], v[4:5], v[166:167]
	v_fma_f64 v[86:87], v[86:87], v[0:1], -v[168:169]
	v_fma_f64 v[120:121], v[120:121], v[0:1], v[170:171]
	;; [unrolled: 2-line block ×5, first 2 shown]
	s_waitcnt vmcnt(8)
	v_mul_f64 v[10:11], v[144:145], v[22:23]
	v_mul_f64 v[22:23], v[100:101], v[22:23]
	v_fma_f64 v[104:105], v[106:107], v[12:13], -v[179:180]
	v_mul_f64 v[106:107], v[148:149], v[18:19]
	v_mul_f64 v[18:19], v[96:97], v[18:19]
	s_waitcnt vmcnt(7)
	v_mul_f64 v[110:111], v[146:147], v[26:27]
	v_fma_f64 v[12:13], v[132:133], v[12:13], v[14:15]
	v_mul_f64 v[14:15], v[102:103], v[26:27]
	v_fma_f64 v[10:11], v[100:101], v[20:21], -v[10:11]
	v_fma_f64 v[20:21], v[144:145], v[20:21], v[22:23]
	s_waitcnt vmcnt(6)
	v_mul_f64 v[22:23], v[150:151], v[30:31]
	v_fma_f64 v[26:27], v[96:97], v[16:17], -v[106:107]
	v_fma_f64 v[16:17], v[148:149], v[16:17], v[18:19]
	v_fma_f64 v[18:19], v[102:103], v[24:25], -v[110:111]
	v_mul_f64 v[30:31], v[98:99], v[30:31]
	v_fma_f64 v[14:15], v[146:147], v[24:25], v[14:15]
	s_waitcnt vmcnt(4)
	v_mul_f64 v[24:25], v[156:157], v[40:41]
	v_mul_f64 v[40:41], v[92:93], v[40:41]
	v_fma_f64 v[22:23], v[98:99], v[28:29], -v[22:23]
	v_mul_f64 v[96:97], v[160:161], v[34:35]
	v_mul_f64 v[34:35], v[88:89], v[34:35]
	s_waitcnt vmcnt(3)
	v_mul_f64 v[98:99], v[158:159], v[48:49]
	v_fma_f64 v[28:29], v[150:151], v[28:29], v[30:31]
	v_mul_f64 v[30:31], v[94:95], v[48:49]
	v_fma_f64 v[24:25], v[92:93], v[38:39], -v[24:25]
	v_fma_f64 v[38:39], v[156:157], v[38:39], v[40:41]
	s_waitcnt vmcnt(2)
	v_mul_f64 v[40:41], v[162:163], v[53:54]
	v_fma_f64 v[48:49], v[88:89], v[32:33], -v[96:97]
	v_fma_f64 v[32:33], v[160:161], v[32:33], v[34:35]
	v_fma_f64 v[34:35], v[94:95], v[46:47], -v[98:99]
	v_mul_f64 v[53:54], v[90:91], v[53:54]
	v_fma_f64 v[30:31], v[158:159], v[46:47], v[30:31]
	s_waitcnt vmcnt(1)
	v_mul_f64 v[46:47], v[118:119], v[57:58]
	v_add_f64 v[88:89], v[70:71], v[86:87]
	v_fma_f64 v[40:41], v[90:91], v[51:52], -v[40:41]
	v_mul_f64 v[57:58], v[84:85], v[57:58]
	s_waitcnt vmcnt(0)
	v_mul_f64 v[90:91], v[134:135], v[61:62]
	v_mul_f64 v[61:62], v[36:37], v[61:62]
	v_fma_f64 v[51:52], v[162:163], v[51:52], v[53:54]
	v_add_f64 v[53:54], v[112:113], v[70:71]
	v_fma_f64 v[46:47], v[84:85], v[55:56], -v[46:47]
	v_fma_f64 v[84:85], v[88:89], -0.5, v[112:113]
	v_add_f64 v[88:89], v[65:66], -v[120:121]
	v_fma_f64 v[55:56], v[118:119], v[55:56], v[57:58]
	v_fma_f64 v[36:37], v[36:37], v[59:60], -v[90:91]
	v_fma_f64 v[57:58], v[134:135], v[59:60], v[61:62]
	v_add_f64 v[59:60], v[65:66], v[120:121]
	v_add_f64 v[90:91], v[108:109], v[6:7]
	;; [unrolled: 1-line block ×4, first 2 shown]
	v_fma_f64 v[61:62], v[88:89], s[0:1], v[84:85]
	v_fma_f64 v[42:43], v[59:60], -0.5, v[42:43]
	v_add_f64 v[59:60], v[70:71], -v[86:87]
	v_fma_f64 v[70:71], v[88:89], s[4:5], v[84:85]
	v_add_f64 v[84:85], v[80:81], v[108:109]
	v_add_f64 v[86:87], v[4:5], v[0:1]
	v_fma_f64 v[80:81], v[90:91], -0.5, v[80:81]
	v_add_f64 v[88:89], v[4:5], -v[0:1]
	v_add_f64 v[4:5], v[122:123], v[4:5]
	v_add_f64 v[65:66], v[65:66], v[120:121]
	v_fma_f64 v[90:91], v[59:60], s[4:5], v[42:43]
	v_fma_f64 v[59:60], v[59:60], s[0:1], v[42:43]
	v_add_f64 v[42:43], v[84:85], v[6:7]
	v_add_f64 v[84:85], v[2:3], v[104:105]
	v_fma_f64 v[86:87], v[86:87], -0.5, v[122:123]
	v_add_f64 v[6:7], v[108:109], -v[6:7]
	v_fma_f64 v[92:93], v[88:89], s[0:1], v[80:81]
	v_fma_f64 v[80:81], v[88:89], s[4:5], v[80:81]
	v_add_f64 v[88:89], v[82:83], v[2:3]
	v_add_f64 v[94:95], v[4:5], v[0:1]
	v_add_f64 v[0:1], v[8:9], v[12:13]
	v_fma_f64 v[4:5], v[84:85], -0.5, v[82:83]
	v_add_f64 v[82:83], v[8:9], -v[12:13]
	v_fma_f64 v[84:85], v[6:7], s[4:5], v[86:87]
	v_fma_f64 v[86:87], v[6:7], s[0:1], v[86:87]
	v_add_f64 v[6:7], v[124:125], v[8:9]
	;; [unrolled: 7-line block ×5, first 2 shown]
	v_add_f64 v[82:83], v[0:1], v[16:17]
	v_add_f64 v[0:1], v[14:15], v[28:29]
	v_fma_f64 v[16:17], v[20:21], -0.5, v[78:79]
	v_add_f64 v[20:21], v[14:15], -v[28:29]
	v_add_f64 v[14:15], v[142:143], v[14:15]
	v_fma_f64 v[78:79], v[10:11], s[4:5], v[6:7]
	v_fma_f64 v[102:103], v[10:11], s[0:1], v[6:7]
	v_add_f64 v[10:11], v[24:25], v[48:49]
	v_add_f64 v[18:19], v[18:19], -v[22:23]
	v_fma_f64 v[0:1], v[0:1], -0.5, v[142:143]
	v_add_f64 v[6:7], v[76:77], v[22:23]
	v_fma_f64 v[22:23], v[20:21], s[0:1], v[16:17]
	v_add_f64 v[76:77], v[14:15], v[28:29]
	v_add_f64 v[14:15], v[38:39], v[32:33]
	v_fma_f64 v[16:17], v[20:21], s[4:5], v[16:17]
	v_add_f64 v[20:21], v[72:73], v[24:25]
	v_fma_f64 v[10:11], v[10:11], -0.5, v[72:73]
	v_fma_f64 v[72:73], v[18:19], s[4:5], v[0:1]
	v_add_f64 v[104:105], v[34:35], v[40:41]
	v_fma_f64 v[106:107], v[18:19], s[0:1], v[0:1]
	v_add_f64 v[0:1], v[152:153], v[38:39]
	v_fma_f64 v[14:15], v[14:15], -0.5, v[152:153]
	v_add_f64 v[18:19], v[24:25], -v[48:49]
	v_add_f64 v[28:29], v[38:39], -v[32:33]
	v_add_f64 v[20:21], v[20:21], v[48:49]
	v_add_f64 v[38:39], v[74:75], v[34:35]
	v_fma_f64 v[48:49], v[104:105], -0.5, v[74:75]
	v_add_f64 v[74:75], v[30:31], -v[51:52]
	v_add_f64 v[104:105], v[0:1], v[32:33]
	v_add_f64 v[0:1], v[30:31], v[51:52]
	v_fma_f64 v[108:109], v[18:19], s[4:5], v[14:15]
	v_fma_f64 v[110:111], v[18:19], s[0:1], v[14:15]
	v_add_f64 v[18:19], v[46:47], v[36:37]
	v_add_f64 v[14:15], v[38:39], v[40:41]
	;; [unrolled: 1-line block ×3, first 2 shown]
	v_add_f64 v[34:35], v[34:35], -v[40:41]
	v_fma_f64 v[24:25], v[28:29], s[0:1], v[10:11]
	v_fma_f64 v[0:1], v[0:1], -0.5, v[154:155]
	v_fma_f64 v[10:11], v[28:29], s[4:5], v[10:11]
	v_fma_f64 v[28:29], v[74:75], s[0:1], v[48:49]
	v_fma_f64 v[32:33], v[74:75], s[4:5], v[48:49]
	v_add_f64 v[30:31], v[154:155], v[30:31]
	v_add_f64 v[40:41], v[68:69], v[46:47]
	v_fma_f64 v[18:19], v[18:19], -0.5, v[68:69]
	v_add_f64 v[48:49], v[55:56], -v[57:58]
	v_add_f64 v[55:56], v[63:64], v[55:56]
	v_fma_f64 v[38:39], v[38:39], -0.5, v[63:64]
	v_fma_f64 v[63:64], v[34:35], s[4:5], v[0:1]
	v_fma_f64 v[67:68], v[34:35], s[0:1], v[0:1]
	v_mov_b32_e32 v34, 3
	v_lshlrev_b32_sdwa v35, v34, v44 dst_sel:DWORD dst_unused:UNUSED_PAD src0_sel:DWORD src1_sel:BYTE_0
	v_add3_u32 v44, 0, v35, v137
	v_add_f64 v[46:47], v[46:47], -v[36:37]
	v_add_f64 v[51:52], v[30:31], v[51:52]
	v_add_f64 v[0:1], v[40:41], v[36:37]
	v_fma_f64 v[30:31], v[48:49], s[0:1], v[18:19]
	ds_write2_b64 v115, v[53:54], v[61:62] offset1:17
	ds_write2_b64 v115, v[70:71], v[42:43] offset0:34 offset1:51
	ds_write2_b64 v115, v[92:93], v[80:81] offset0:68 offset1:85
	;; [unrolled: 1-line block ×3, first 2 shown]
	ds_write_b64 v44, v[4:5] offset:1088
	v_lshlrev_b32_sdwa v4, v34, v181 dst_sel:DWORD dst_unused:UNUSED_PAD src0_sel:DWORD src1_sel:BYTE_0
	v_fma_f64 v[18:19], v[48:49], s[4:5], v[18:19]
	v_add3_u32 v53, 0, v4, v137
	ds_write2_b64 v53, v[2:3], v[26:27] offset0:153 offset1:170
	ds_write_b64 v53, v[12:13] offset:1496
	v_lshlrev_b32_sdwa v2, v34, v182 dst_sel:DWORD dst_unused:UNUSED_PAD src0_sel:DWORD src1_sel:BYTE_0
	v_add3_u32 v54, 0, v2, v137
	v_lshlrev_b32_sdwa v2, v34, v183 dst_sel:DWORD dst_unused:UNUSED_PAD src0_sel:DWORD src1_sel:BYTE_0
	v_add3_u32 v61, 0, v2, v137
	;; [unrolled: 2-line block ×4, first 2 shown]
	v_add_u32_e32 v62, 0x400, v61
	v_add_u32_e32 v70, 0x800, v69
	;; [unrolled: 1-line block ×3, first 2 shown]
	v_add_f64 v[55:56], v[55:56], v[57:58]
	v_fma_f64 v[57:58], v[46:47], s[4:5], v[38:39]
	v_fma_f64 v[74:75], v[46:47], s[0:1], v[38:39]
	ds_write2_b64 v54, v[6:7], v[22:23] offset0:204 offset1:221
	ds_write_b64 v54, v[16:17] offset:1904
	ds_write2_b64 v62, v[20:21], v[24:25] offset0:127 offset1:144
	ds_write_b64 v61, v[10:11] offset:2312
	;; [unrolled: 2-line block ×4, first 2 shown]
	s_waitcnt lgkmcnt(0)
	; wave barrier
	s_waitcnt lgkmcnt(0)
	ds_read2_b64 v[20:23], v115 offset0:51 offset1:68
	ds_read2_b64 v[12:15], v115 offset0:85 offset1:102
	;; [unrolled: 1-line block ×11, first 2 shown]
	ds_read_b64 v[46:47], v114
	ds_read_b64 v[48:49], v115 offset:3128
	s_waitcnt lgkmcnt(0)
	; wave barrier
	s_waitcnt lgkmcnt(0)
	ds_write2_b64 v115, v[65:66], v[90:91] offset1:17
	ds_write2_b64 v115, v[59:60], v[94:95] offset0:34 offset1:51
	ds_write2_b64 v115, v[84:85], v[86:87] offset0:68 offset1:85
	;; [unrolled: 1-line block ×3, first 2 shown]
	ds_write_b64 v44, v[100:101] offset:1088
	ds_write2_b64 v53, v[82:83], v[78:79] offset0:153 offset1:170
	ds_write_b64 v53, v[102:103] offset:1496
	ds_write2_b64 v54, v[76:77], v[72:73] offset0:204 offset1:221
	;; [unrolled: 2-line block ×5, first 2 shown]
	ds_write_b64 v71, v[74:75] offset:3128
	s_waitcnt lgkmcnt(0)
	; wave barrier
	s_waitcnt lgkmcnt(0)
	s_and_saveexec_b64 s[0:1], vcc
	s_cbranch_execz .LBB0_18
; %bb.17:
	v_mul_u32_u24_e32 v44, 7, v50
	v_lshlrev_b32_e32 v44, 4, v44
	global_load_dwordx4 v[51:54], v44, s[8:9] offset:592
	global_load_dwordx4 v[55:58], v44, s[8:9] offset:576
	;; [unrolled: 1-line block ×7, first 2 shown]
	v_mov_b32_e32 v44, 0xffffff89
	v_mad_u32_u24 v44, v50, 7, v44
	v_lshlrev_b64 v[79:80], 4, v[44:45]
	v_mov_b32_e32 v44, s9
	v_add_co_u32_e32 v107, vcc, s8, v79
	v_addc_co_u32_e32 v108, vcc, v44, v80, vcc
	global_load_dwordx4 v[79:82], v[107:108], off offset:560
	global_load_dwordx4 v[83:86], v[107:108], off offset:624
	;; [unrolled: 1-line block ×7, first 2 shown]
	v_add_u32_e32 v44, 0x800, v115
	ds_read2_b64 v[107:110], v115 offset0:17 offset1:34
	ds_read2_b64 v[116:119], v115 offset0:221 offset1:238
	;; [unrolled: 1-line block ×7, first 2 shown]
	ds_read_b64 v[168:169], v115 offset:3128
	ds_read_b64 v[170:171], v114
	ds_read2_b64 v[111:114], v44 offset0:67 offset1:84
	ds_read2_b64 v[144:147], v44 offset0:33 offset1:50
	v_add_u32_e32 v137, 0x400, v115
	ds_read2_b64 v[148:151], v137 offset0:127 offset1:144
	s_mov_b32 s0, 0x667f3bcd
	s_mov_b32 s1, 0x3fe6a09e
	v_mul_u32_u24_e32 v115, 7, v136
	s_mov_b32 s5, 0xbfe6a09e
	s_mov_b32 s4, s0
	v_lshlrev_b32_e32 v115, 4, v115
	global_load_dwordx4 v[152:155], v115, s[8:9] offset:560
	global_load_dwordx4 v[156:159], v115, s[8:9] offset:544
	;; [unrolled: 1-line block ×4, first 2 shown]
	v_mov_b32_e32 v137, v45
	s_waitcnt vmcnt(17)
	v_mul_f64 v[172:173], v[34:35], v[53:54]
	s_waitcnt vmcnt(16) lgkmcnt(7)
	v_mul_f64 v[183:184], v[128:129], v[57:58]
	s_waitcnt vmcnt(15)
	v_mul_f64 v[175:176], v[122:123], v[61:62]
	s_waitcnt vmcnt(14) lgkmcnt(2)
	v_mul_f64 v[177:178], v[113:114], v[65:66]
	s_waitcnt vmcnt(13)
	v_mul_f64 v[179:180], v[12:13], v[69:70]
	s_waitcnt vmcnt(12)
	;; [unrolled: 2-line block ×3, first 2 shown]
	v_mul_f64 v[185:186], v[168:169], v[77:78]
	v_mul_f64 v[69:70], v[124:125], v[69:70]
	s_waitcnt lgkmcnt(1)
	v_mul_f64 v[73:74], v[144:145], v[73:74]
	v_mul_f64 v[57:58], v[0:1], v[57:58]
	;; [unrolled: 1-line block ×6, first 2 shown]
	v_fma_f64 v[118:119], v[118:119], v[51:52], v[172:173]
	v_fma_f64 v[38:39], v[38:39], v[59:60], -v[175:176]
	v_fma_f64 v[42:43], v[42:43], v[63:64], -v[177:178]
	v_fma_f64 v[124:125], v[124:125], v[67:68], v[179:180]
	v_fma_f64 v[144:145], v[144:145], v[71:72], v[181:182]
	v_fma_f64 v[0:1], v[0:1], v[55:56], -v[183:184]
	v_fma_f64 v[48:49], v[48:49], v[75:76], -v[185:186]
	;; [unrolled: 1-line block ×4, first 2 shown]
	v_fma_f64 v[55:56], v[55:56], v[128:129], v[57:58]
	v_fma_f64 v[57:58], v[75:76], v[168:169], v[77:78]
	v_fma_f64 v[34:35], v[34:35], v[51:52], -v[53:54]
	v_fma_f64 v[51:52], v[59:60], v[122:123], v[61:62]
	v_fma_f64 v[53:54], v[63:64], v[113:114], v[65:66]
	v_add_f64 v[59:60], v[109:110], -v[118:119]
	v_add_f64 v[42:43], v[38:39], -v[42:43]
	;; [unrolled: 1-line block ×8, first 2 shown]
	s_waitcnt vmcnt(7)
	v_mul_f64 v[63:64], v[134:135], v[93:94]
	v_add_f64 v[69:70], v[59:60], v[42:43]
	s_waitcnt vmcnt(6) lgkmcnt(0)
	v_mul_f64 v[65:66], v[150:151], v[97:98]
	v_add_f64 v[71:72], v[61:62], v[48:49]
	v_fma_f64 v[118:119], v[12:13], 2.0, -v[16:17]
	v_add_f64 v[73:74], v[16:17], -v[57:58]
	v_fma_f64 v[30:31], v[30:31], 2.0, -v[34:35]
	v_add_f64 v[75:76], v[34:35], -v[53:54]
	v_fma_f64 v[12:13], v[38:39], 2.0, -v[42:43]
	v_fma_f64 v[109:110], v[109:110], 2.0, -v[59:60]
	;; [unrolled: 1-line block ×6, first 2 shown]
	v_mul_f64 v[187:188], v[120:121], v[81:82]
	v_fma_f64 v[55:56], v[73:74], s[0:1], v[75:76]
	v_add_f64 v[168:169], v[30:31], -v[12:13]
	v_fma_f64 v[12:13], v[59:60], 2.0, -v[69:70]
	v_fma_f64 v[172:173], v[34:35], 2.0, -v[75:76]
	v_fma_f64 v[53:54], v[71:72], s[0:1], v[69:70]
	v_add_f64 v[144:145], v[109:110], -v[51:52]
	v_fma_f64 v[175:176], v[22:23], v[91:92], -v[63:64]
	v_fma_f64 v[177:178], v[26:27], v[95:96], -v[65:66]
	v_fma_f64 v[51:52], v[71:72], s[4:5], v[55:56]
	global_load_dwordx4 v[63:66], v115, s[8:9] offset:592
	v_fma_f64 v[34:35], v[77:78], s[4:5], v[12:13]
	v_fma_f64 v[71:72], v[16:17], s[4:5], v[172:173]
	v_fma_f64 v[113:114], v[36:37], v[79:80], -v[187:188]
	v_fma_f64 v[53:54], v[73:74], s[0:1], v[53:54]
	v_mul_f64 v[81:82], v[36:37], v[81:82]
	v_mul_f64 v[189:190], v[111:112], v[85:86]
	v_fma_f64 v[59:60], v[75:76], 2.0, -v[51:52]
	v_fma_f64 v[38:39], v[124:125], 2.0, -v[61:62]
	v_fma_f64 v[73:74], v[16:17], s[0:1], v[34:35]
	v_fma_f64 v[71:72], v[77:78], s[4:5], v[71:72]
	global_load_dwordx4 v[75:78], v115, s[8:9] offset:576
	global_load_dwordx4 v[34:37], v115, s[8:9] offset:640
	ds_read2_b64 v[122:125], v44 offset0:101 offset1:118
	v_mul_f64 v[191:192], v[32:33], v[89:90]
	s_waitcnt vmcnt(8)
	v_mul_f64 v[67:68], v[6:7], v[101:102]
	v_fma_f64 v[0:1], v[0:1], 2.0, -v[48:49]
	v_fma_f64 v[48:49], v[40:41], v[83:84], -v[189:190]
	s_waitcnt vmcnt(7)
	v_mul_f64 v[16:17], v[10:11], v[105:106]
	v_mul_f64 v[22:23], v[22:23], v[93:94]
	;; [unrolled: 1-line block ×4, first 2 shown]
	s_waitcnt lgkmcnt(0)
	v_mul_f64 v[97:98], v[124:125], v[105:106]
	v_mul_f64 v[89:90], v[116:117], v[89:90]
	;; [unrolled: 1-line block ×3, first 2 shown]
	v_fma_f64 v[128:129], v[116:117], v[87:88], v[191:192]
	v_fma_f64 v[179:180], v[142:143], v[99:100], v[67:68]
	;; [unrolled: 1-line block ×5, first 2 shown]
	v_fma_f64 v[6:7], v[6:7], v[99:100], -v[93:94]
	v_fma_f64 v[10:11], v[10:11], v[103:104], -v[97:98]
	;; [unrolled: 1-line block ×3, first 2 shown]
	v_fma_f64 v[79:80], v[79:80], v[120:121], v[81:82]
	v_fma_f64 v[40:41], v[83:84], v[111:112], v[40:41]
	v_add_f64 v[42:43], v[38:39], -v[42:43]
	v_add_f64 v[48:49], v[113:114], -v[48:49]
	;; [unrolled: 1-line block ×11, first 2 shown]
	v_fma_f64 v[38:39], v[38:39], 2.0, -v[42:43]
	v_add_f64 v[42:43], v[48:49], v[81:82]
	v_add_f64 v[89:90], v[83:84], -v[16:17]
	v_add_f64 v[91:92], v[26:27], v[85:86]
	v_fma_f64 v[95:96], v[107:108], 2.0, -v[81:82]
	v_add_f64 v[93:94], v[32:33], -v[40:41]
	v_fma_f64 v[40:41], v[79:80], 2.0, -v[40:41]
	v_fma_f64 v[97:98], v[175:176], 2.0, -v[83:84]
	;; [unrolled: 1-line block ×7, first 2 shown]
	v_add_f64 v[57:58], v[144:145], v[0:1]
	v_fma_f64 v[87:88], v[109:110], 2.0, -v[144:145]
	v_fma_f64 v[48:49], v[30:31], 2.0, -v[168:169]
	;; [unrolled: 1-line block ×3, first 2 shown]
	v_fma_f64 v[30:31], v[91:92], s[0:1], v[42:43]
	v_fma_f64 v[79:80], v[89:90], s[0:1], v[93:94]
	v_add_f64 v[101:102], v[95:96], -v[40:41]
	v_add_f64 v[6:7], v[97:98], -v[6:7]
	;; [unrolled: 1-line block ×4, first 2 shown]
	v_fma_f64 v[105:106], v[81:82], 2.0, -v[42:43]
	v_fma_f64 v[109:110], v[26:27], 2.0, -v[91:92]
	;; [unrolled: 1-line block ×4, first 2 shown]
	v_add_f64 v[28:29], v[87:88], -v[38:39]
	v_add_f64 v[26:27], v[48:49], -v[0:1]
	v_fma_f64 v[32:33], v[89:90], s[0:1], v[30:31]
	v_fma_f64 v[30:31], v[91:92], s[4:5], v[79:80]
	v_add_f64 v[40:41], v[101:102], v[6:7]
	v_add_f64 v[38:39], v[103:104], -v[16:17]
	v_fma_f64 v[0:1], v[109:110], s[4:5], v[105:106]
	v_fma_f64 v[6:7], v[97:98], 2.0, -v[6:7]
	v_fma_f64 v[81:82], v[87:88], 2.0, -v[28:29]
	;; [unrolled: 1-line block ×7, first 2 shown]
	v_fma_f64 v[93:94], v[107:108], s[0:1], v[0:1]
	v_fma_f64 v[42:43], v[95:96], 2.0, -v[101:102]
	v_fma_f64 v[0:1], v[22:23], 2.0, -v[16:17]
	;; [unrolled: 1-line block ×3, first 2 shown]
	s_waitcnt vmcnt(2)
	v_mul_f64 v[22:23], v[2:3], v[65:66]
	v_mul_f64 v[48:49], v[126:127], v[154:155]
	;; [unrolled: 1-line block ×5, first 2 shown]
	v_fma_f64 v[91:92], v[107:108], s[4:5], v[111:112]
	s_waitcnt vmcnt(1)
	v_mul_f64 v[107:108], v[4:5], v[77:78]
	v_add_f64 v[97:98], v[42:43], -v[0:1]
	v_add_f64 v[95:96], v[16:17], -v[6:7]
	v_fma_f64 v[0:1], v[130:131], v[63:64], v[22:23]
	v_fma_f64 v[22:23], v[14:15], v[152:153], -v[48:49]
	v_fma_f64 v[6:7], v[18:19], v[160:161], -v[99:100]
	;; [unrolled: 1-line block ×4, first 2 shown]
	s_waitcnt vmcnt(0)
	v_mul_f64 v[103:104], v[8:9], v[36:37]
	v_mul_f64 v[20:21], v[20:21], v[158:159]
	;; [unrolled: 1-line block ×8, first 2 shown]
	v_fma_f64 v[101:102], v[140:141], v[75:76], v[107:108]
	v_fma_f64 v[103:104], v[122:123], v[34:35], v[103:104]
	;; [unrolled: 1-line block ×4, first 2 shown]
	v_fma_f64 v[75:76], v[4:5], v[75:76], -v[77:78]
	v_fma_f64 v[4:5], v[8:9], v[34:35], -v[36:37]
	v_fma_f64 v[2:3], v[2:3], v[63:64], -v[65:66]
	v_fma_f64 v[8:9], v[152:153], v[126:127], v[14:15]
	v_fma_f64 v[14:15], v[160:161], v[146:147], v[18:19]
	v_add_f64 v[18:19], v[170:171], -v[0:1]
	v_add_f64 v[34:35], v[22:23], -v[6:7]
	;; [unrolled: 1-line block ×8, first 2 shown]
	v_fma_f64 v[2:3], v[105:106], 2.0, -v[93:94]
	v_fma_f64 v[6:7], v[42:43], 2.0, -v[97:98]
	;; [unrolled: 1-line block ×3, first 2 shown]
	v_add_f64 v[42:43], v[18:19], v[34:35]
	v_add_f64 v[16:17], v[36:37], -v[63:64]
	v_add_f64 v[99:100], v[24:25], v[65:66]
	v_fma_f64 v[105:106], v[170:171], 2.0, -v[18:19]
	v_add_f64 v[103:104], v[77:78], -v[14:15]
	v_fma_f64 v[8:9], v[8:9], 2.0, -v[14:15]
	v_fma_f64 v[14:15], v[48:49], 2.0, -v[36:37]
	;; [unrolled: 1-line block ×11, first 2 shown]
	v_add_f64 v[8:9], v[105:106], -v[8:9]
	v_add_f64 v[18:19], v[20:21], -v[48:49]
	;; [unrolled: 1-line block ×4, first 2 shown]
	v_fma_f64 v[91:92], v[109:110], s[4:5], v[91:92]
	v_fma_f64 v[24:25], v[99:100], s[0:1], v[42:43]
	;; [unrolled: 1-line block ×5, first 2 shown]
	v_fma_f64 v[105:106], v[105:106], 2.0, -v[8:9]
	v_fma_f64 v[107:108], v[20:21], 2.0, -v[18:19]
	;; [unrolled: 1-line block ×4, first 2 shown]
	v_fma_f64 v[16:17], v[16:17], s[0:1], v[24:25]
	v_fma_f64 v[14:15], v[99:100], s[4:5], v[34:35]
	v_add_f64 v[20:21], v[8:9], v[22:23]
	v_add_f64 v[18:19], v[77:78], -v[18:19]
	v_fma_f64 v[24:25], v[36:37], s[0:1], v[48:49]
	v_fma_f64 v[22:23], v[63:64], s[4:5], v[65:66]
	v_add_f64 v[36:37], v[105:106], -v[107:108]
	v_add_f64 v[34:35], v[109:110], -v[46:47]
	v_fma_f64 v[48:49], v[42:43], 2.0, -v[16:17]
	v_fma_f64 v[46:47], v[103:104], 2.0, -v[14:15]
	;; [unrolled: 1-line block ×8, first 2 shown]
	v_mov_b32_e32 v8, s3
	v_add_co_u32_e32 v42, vcc, s2, v138
	v_addc_co_u32_e32 v43, vcc, v8, v139, vcc
	v_lshlrev_b64 v[8:9], 4, v[136:137]
	s_mov_b32 s1, 0xa0a0a0a1
	v_add_co_u32_e32 v8, vcc, v42, v8
	v_addc_co_u32_e32 v9, vcc, v43, v9, vcc
	global_store_dwordx4 v[8:9], v[99:102], off
	global_store_dwordx4 v[8:9], v[75:78], off offset:816
	global_store_dwordx4 v[8:9], v[63:66], off offset:1632
	global_store_dwordx4 v[8:9], v[46:49], off offset:2448
	global_store_dwordx4 v[8:9], v[34:37], off offset:3264
	global_store_dwordx4 v[8:9], v[22:25], off offset:4080
	s_movk_i32 s0, 0x1000
	v_mul_hi_u32 v24, v174, s1
	v_add_co_u32_e32 v22, vcc, s0, v8
	v_addc_co_u32_e32 v23, vcc, 0, v9, vcc
	v_fma_f64 v[0:1], v[111:112], 2.0, -v[91:92]
	global_store_dwordx4 v[22:23], v[18:21], off offset:800
	global_store_dwordx4 v[22:23], v[14:17], off offset:1616
	s_movk_i32 s2, 0x110
	v_lshrrev_b32_e32 v14, 5, v24
	v_mul_u32_u24_e32 v44, 0x165, v14
	v_lshlrev_b64 v[14:15], 4, v[44:45]
	v_fma_f64 v[12:13], v[12:13], 2.0, -v[73:74]
	v_add_co_u32_e32 v14, vcc, v8, v14
	v_addc_co_u32_e32 v15, vcc, v9, v15, vcc
	v_add_co_u32_e32 v16, vcc, s2, v14
	v_addc_co_u32_e32 v17, vcc, 0, v15, vcc
	global_store_dwordx4 v[14:15], v[4:7], off offset:272
	global_store_dwordx4 v[14:15], v[0:3], off offset:1088
	;; [unrolled: 1-line block ×6, first 2 shown]
	v_mul_hi_u32 v2, v50, s1
	v_add_co_u32_e32 v0, vcc, s0, v14
	v_addc_co_u32_e32 v1, vcc, 0, v15, vcc
	global_store_dwordx4 v[0:1], v[38:41], off offset:1072
	global_store_dwordx4 v[0:1], v[30:33], off offset:1888
	v_lshrrev_b32_e32 v0, 5, v2
	v_fma_f64 v[10:11], v[172:173], 2.0, -v[71:72]
	v_mul_u32_u24_e32 v44, 0x165, v0
	v_fma_f64 v[61:62], v[69:70], 2.0, -v[53:54]
	v_fma_f64 v[69:70], v[144:145], 2.0, -v[57:58]
	;; [unrolled: 1-line block ×3, first 2 shown]
	v_lshlrev_b64 v[0:1], 4, v[44:45]
	s_movk_i32 s0, 0x220
	v_add_co_u32_e32 v0, vcc, v8, v0
	v_addc_co_u32_e32 v1, vcc, v9, v1, vcc
	v_add_co_u32_e32 v2, vcc, s0, v0
	v_addc_co_u32_e32 v3, vcc, 0, v1, vcc
	global_store_dwordx4 v[0:1], v[79:82], off offset:544
	global_store_dwordx4 v[0:1], v[10:13], off offset:1360
	;; [unrolled: 1-line block ×6, first 2 shown]
	v_add_co_u32_e32 v0, vcc, 0x1000, v0
	v_addc_co_u32_e32 v1, vcc, 0, v1, vcc
	global_store_dwordx4 v[0:1], v[55:58], off offset:1344
	global_store_dwordx4 v[0:1], v[51:54], off offset:2160
.LBB0_18:
	s_endpgm
	.section	.rodata,"a",@progbits
	.p2align	6, 0x0
	.amdhsa_kernel fft_rtc_fwd_len408_factors_17_3_8_wgs_51_tpt_17_halfLds_dp_ip_CI_unitstride_sbrr_dirReg
		.amdhsa_group_segment_fixed_size 0
		.amdhsa_private_segment_fixed_size 0
		.amdhsa_kernarg_size 88
		.amdhsa_user_sgpr_count 6
		.amdhsa_user_sgpr_private_segment_buffer 1
		.amdhsa_user_sgpr_dispatch_ptr 0
		.amdhsa_user_sgpr_queue_ptr 0
		.amdhsa_user_sgpr_kernarg_segment_ptr 1
		.amdhsa_user_sgpr_dispatch_id 0
		.amdhsa_user_sgpr_flat_scratch_init 0
		.amdhsa_user_sgpr_private_segment_size 0
		.amdhsa_uses_dynamic_stack 0
		.amdhsa_system_sgpr_private_segment_wavefront_offset 0
		.amdhsa_system_sgpr_workgroup_id_x 1
		.amdhsa_system_sgpr_workgroup_id_y 0
		.amdhsa_system_sgpr_workgroup_id_z 0
		.amdhsa_system_sgpr_workgroup_info 0
		.amdhsa_system_vgpr_workitem_id 0
		.amdhsa_next_free_vgpr 230
		.amdhsa_next_free_sgpr 58
		.amdhsa_reserve_vcc 1
		.amdhsa_reserve_flat_scratch 0
		.amdhsa_float_round_mode_32 0
		.amdhsa_float_round_mode_16_64 0
		.amdhsa_float_denorm_mode_32 3
		.amdhsa_float_denorm_mode_16_64 3
		.amdhsa_dx10_clamp 1
		.amdhsa_ieee_mode 1
		.amdhsa_fp16_overflow 0
		.amdhsa_exception_fp_ieee_invalid_op 0
		.amdhsa_exception_fp_denorm_src 0
		.amdhsa_exception_fp_ieee_div_zero 0
		.amdhsa_exception_fp_ieee_overflow 0
		.amdhsa_exception_fp_ieee_underflow 0
		.amdhsa_exception_fp_ieee_inexact 0
		.amdhsa_exception_int_div_zero 0
	.end_amdhsa_kernel
	.text
.Lfunc_end0:
	.size	fft_rtc_fwd_len408_factors_17_3_8_wgs_51_tpt_17_halfLds_dp_ip_CI_unitstride_sbrr_dirReg, .Lfunc_end0-fft_rtc_fwd_len408_factors_17_3_8_wgs_51_tpt_17_halfLds_dp_ip_CI_unitstride_sbrr_dirReg
                                        ; -- End function
	.section	.AMDGPU.csdata,"",@progbits
; Kernel info:
; codeLenInByte = 19284
; NumSgprs: 62
; NumVgprs: 230
; ScratchSize: 0
; MemoryBound: 1
; FloatMode: 240
; IeeeMode: 1
; LDSByteSize: 0 bytes/workgroup (compile time only)
; SGPRBlocks: 7
; VGPRBlocks: 57
; NumSGPRsForWavesPerEU: 62
; NumVGPRsForWavesPerEU: 230
; Occupancy: 1
; WaveLimiterHint : 1
; COMPUTE_PGM_RSRC2:SCRATCH_EN: 0
; COMPUTE_PGM_RSRC2:USER_SGPR: 6
; COMPUTE_PGM_RSRC2:TRAP_HANDLER: 0
; COMPUTE_PGM_RSRC2:TGID_X_EN: 1
; COMPUTE_PGM_RSRC2:TGID_Y_EN: 0
; COMPUTE_PGM_RSRC2:TGID_Z_EN: 0
; COMPUTE_PGM_RSRC2:TIDIG_COMP_CNT: 0
	.type	__hip_cuid_a0713828e5c82901,@object ; @__hip_cuid_a0713828e5c82901
	.section	.bss,"aw",@nobits
	.globl	__hip_cuid_a0713828e5c82901
__hip_cuid_a0713828e5c82901:
	.byte	0                               ; 0x0
	.size	__hip_cuid_a0713828e5c82901, 1

	.ident	"AMD clang version 19.0.0git (https://github.com/RadeonOpenCompute/llvm-project roc-6.4.0 25133 c7fe45cf4b819c5991fe208aaa96edf142730f1d)"
	.section	".note.GNU-stack","",@progbits
	.addrsig
	.addrsig_sym __hip_cuid_a0713828e5c82901
	.amdgpu_metadata
---
amdhsa.kernels:
  - .args:
      - .actual_access:  read_only
        .address_space:  global
        .offset:         0
        .size:           8
        .value_kind:     global_buffer
      - .offset:         8
        .size:           8
        .value_kind:     by_value
      - .actual_access:  read_only
        .address_space:  global
        .offset:         16
        .size:           8
        .value_kind:     global_buffer
      - .actual_access:  read_only
        .address_space:  global
        .offset:         24
        .size:           8
        .value_kind:     global_buffer
      - .offset:         32
        .size:           8
        .value_kind:     by_value
      - .actual_access:  read_only
        .address_space:  global
        .offset:         40
        .size:           8
        .value_kind:     global_buffer
      - .actual_access:  read_only
        .address_space:  global
        .offset:         48
        .size:           8
        .value_kind:     global_buffer
      - .offset:         56
        .size:           4
        .value_kind:     by_value
      - .actual_access:  read_only
        .address_space:  global
        .offset:         64
        .size:           8
        .value_kind:     global_buffer
      - .actual_access:  read_only
        .address_space:  global
        .offset:         72
        .size:           8
        .value_kind:     global_buffer
      - .address_space:  global
        .offset:         80
        .size:           8
        .value_kind:     global_buffer
    .group_segment_fixed_size: 0
    .kernarg_segment_align: 8
    .kernarg_segment_size: 88
    .language:       OpenCL C
    .language_version:
      - 2
      - 0
    .max_flat_workgroup_size: 51
    .name:           fft_rtc_fwd_len408_factors_17_3_8_wgs_51_tpt_17_halfLds_dp_ip_CI_unitstride_sbrr_dirReg
    .private_segment_fixed_size: 0
    .sgpr_count:     62
    .sgpr_spill_count: 0
    .symbol:         fft_rtc_fwd_len408_factors_17_3_8_wgs_51_tpt_17_halfLds_dp_ip_CI_unitstride_sbrr_dirReg.kd
    .uniform_work_group_size: 1
    .uses_dynamic_stack: false
    .vgpr_count:     230
    .vgpr_spill_count: 0
    .wavefront_size: 64
amdhsa.target:   amdgcn-amd-amdhsa--gfx906
amdhsa.version:
  - 1
  - 2
...

	.end_amdgpu_metadata
